;; amdgpu-corpus repo=ROCm/rocFFT kind=compiled arch=gfx1201 opt=O3
	.text
	.amdgcn_target "amdgcn-amd-amdhsa--gfx1201"
	.amdhsa_code_object_version 6
	.protected	bluestein_single_back_len1352_dim1_sp_op_CI_CI ; -- Begin function bluestein_single_back_len1352_dim1_sp_op_CI_CI
	.globl	bluestein_single_back_len1352_dim1_sp_op_CI_CI
	.p2align	8
	.type	bluestein_single_back_len1352_dim1_sp_op_CI_CI,@function
bluestein_single_back_len1352_dim1_sp_op_CI_CI: ; @bluestein_single_back_len1352_dim1_sp_op_CI_CI
; %bb.0:
	s_load_b128 s[16:19], s[0:1], 0x28
	v_mul_u32_u24_e32 v1, 0x4ed, v0
	s_mov_b32 s2, exec_lo
	v_mov_b32_e32 v5, 0
	s_delay_alu instid0(VALU_DEP_2) | instskip(NEXT) | instid1(VALU_DEP_1)
	v_lshrrev_b32_e32 v1, 16, v1
	v_add_nc_u32_e32 v4, ttmp9, v1
	s_wait_kmcnt 0x0
	s_delay_alu instid0(VALU_DEP_1)
	v_cmpx_gt_u64_e64 s[16:17], v[4:5]
	s_cbranch_execz .LBB0_10
; %bb.1:
	s_clause 0x1
	s_load_b128 s[4:7], s[0:1], 0x18
	s_load_b128 s[8:11], s[0:1], 0x0
	v_mul_lo_u16 v1, v1, 52
	v_mov_b32_e32 v5, v4
	s_delay_alu instid0(VALU_DEP_2) | instskip(SKIP_2) | instid1(VALU_DEP_1)
	v_sub_nc_u16 v76, v0, v1
	scratch_store_b64 off, v[5:6], off      ; 8-byte Folded Spill
	v_and_b32_e32 v159, 0xffff, v76
	v_lshlrev_b32_e32 v193, 3, v159
	v_or_b32_e32 v18, 0x340, v159
	s_wait_kmcnt 0x0
	s_load_b128 s[12:15], s[4:5], 0x0
	s_clause 0x1
	global_load_b64 v[21:22], v193, s[8:9] offset:5408
	global_load_b64 v[23:24], v193, s[8:9]
	s_movk_i32 s4, 0xec80
	s_mov_b32 s5, -1
	s_wait_kmcnt 0x0
	v_mad_co_u64_u32 v[0:1], null, s14, v4, 0
	v_mad_co_u64_u32 v[2:3], null, s12, v159, 0
	s_mul_u64 s[2:3], s[12:13], 0x1520
	s_mul_u64 s[4:5], s[12:13], s[4:5]
	v_mad_co_u64_u32 v[16:17], null, s12, v18, 0
	s_delay_alu instid0(VALU_DEP_2) | instskip(NEXT) | instid1(VALU_DEP_1)
	v_mad_co_u64_u32 v[4:5], null, s15, v4, v[1:2]
	v_mad_co_u64_u32 v[5:6], null, s13, v159, v[3:4]
	v_mov_b32_e32 v1, v4
	s_delay_alu instid0(VALU_DEP_1) | instskip(NEXT) | instid1(VALU_DEP_3)
	v_lshlrev_b64_e32 v[0:1], 3, v[0:1]
	v_mov_b32_e32 v3, v5
	s_delay_alu instid0(VALU_DEP_2) | instskip(NEXT) | instid1(VALU_DEP_2)
	v_add_co_u32 v10, vcc_lo, s18, v0
	v_lshlrev_b64_e32 v[2:3], 3, v[2:3]
	s_delay_alu instid0(VALU_DEP_4) | instskip(NEXT) | instid1(VALU_DEP_2)
	v_add_co_ci_u32_e32 v11, vcc_lo, s19, v1, vcc_lo
	v_add_co_u32 v2, vcc_lo, v10, v2
	s_wait_alu 0xfffd
	s_delay_alu instid0(VALU_DEP_2) | instskip(SKIP_4) | instid1(VALU_DEP_2)
	v_add_co_ci_u32_e32 v3, vcc_lo, v11, v3, vcc_lo
	global_load_b64 v[0:1], v[2:3], off
	v_add_co_u32 v2, vcc_lo, v2, s2
	s_wait_alu 0xfffd
	v_add_co_ci_u32_e32 v3, vcc_lo, s3, v3, vcc_lo
	v_add_co_u32 v6, vcc_lo, v2, s4
	s_wait_alu 0xfffd
	s_delay_alu instid0(VALU_DEP_2)
	v_add_co_ci_u32_e32 v7, vcc_lo, s5, v3, vcc_lo
	global_load_b64 v[4:5], v[2:3], off
	global_load_b64 v[29:30], v193, s[8:9] offset:416
	global_load_b64 v[2:3], v[6:7], off
	v_add_co_u32 v8, vcc_lo, v6, s2
	s_wait_alu 0xfffd
	v_add_co_ci_u32_e32 v9, vcc_lo, s3, v7, vcc_lo
	global_load_b64 v[25:26], v193, s[8:9] offset:5824
	v_add_co_u32 v6, vcc_lo, v8, s4
	s_wait_alu 0xfffd
	v_add_co_ci_u32_e32 v7, vcc_lo, s5, v9, vcc_lo
	global_load_b64 v[8:9], v[8:9], off
	v_add_co_u32 v12, vcc_lo, v6, s2
	s_wait_alu 0xfffd
	v_add_co_ci_u32_e32 v13, vcc_lo, s3, v7, vcc_lo
	global_load_b64 v[27:28], v193, s[8:9] offset:6240
	global_load_b64 v[14:15], v[12:13], off
	scratch_store_b32 off, v18, off offset:60 ; 4-byte Folded Spill
	v_mad_co_u64_u32 v[17:18], null, s13, v18, v[17:18]
	v_add_co_u32 v12, vcc_lo, v12, s4
	s_wait_alu 0xfffd
	v_add_co_ci_u32_e32 v13, vcc_lo, s5, v13, vcc_lo
	s_delay_alu instid0(VALU_DEP_3) | instskip(NEXT) | instid1(VALU_DEP_2)
	v_lshlrev_b64_e32 v[16:17], 3, v[16:17]
	v_mad_co_u64_u32 v[18:19], null, 0x1a0, s12, v[12:13]
	s_delay_alu instid0(VALU_DEP_2) | instskip(SKIP_1) | instid1(VALU_DEP_3)
	v_add_co_u32 v10, vcc_lo, v10, v16
	s_wait_alu 0xfffd
	v_add_co_ci_u32_e32 v11, vcc_lo, v11, v17, vcc_lo
	s_delay_alu instid0(VALU_DEP_3) | instskip(SKIP_4) | instid1(VALU_DEP_2)
	v_mad_co_u64_u32 v[19:20], null, 0x1a0, s13, v[19:20]
	s_load_b64 s[12:13], s[0:1], 0x38
	s_wait_loadcnt 0x7
	v_mul_f32_e32 v16, v1, v24
	v_mul_f32_e32 v17, v0, v24
	v_fmac_f32_e32 v16, v0, v23
	s_delay_alu instid0(VALU_DEP_2)
	v_fma_f32 v17, v1, v23, -v17
	v_add_co_u32 v77, null, v159, 52
	s_wait_loadcnt 0x6
	v_mul_f32_e32 v0, v5, v22
	v_mul_f32_e32 v1, v4, v22
	s_wait_loadcnt 0x4
	v_mul_f32_e32 v20, v2, v30
	v_lshlrev_b32_e32 v160, 4, v77
	v_lshlrev_b32_e32 v202, 4, v159
	v_fmac_f32_e32 v0, v4, v21
	v_mul_f32_e32 v4, v3, v30
	s_clause 0x2
	global_load_b64 v[35:36], v193, s[8:9] offset:832
	global_load_b64 v[33:34], v193, s[8:9] offset:1248
	;; [unrolled: 1-line block ×3, first 2 shown]
	global_load_b64 v[6:7], v[6:7], off
	global_load_b64 v[12:13], v[12:13], off
	s_clause 0x1
	scratch_store_b64 off, v[23:24], off offset:20
	scratch_store_b64 off, v[29:30], off offset:44
	v_fmac_f32_e32 v4, v2, v29
	v_fma_f32 v1, v5, v21, -v1
	v_fma_f32 v5, v3, v29, -v20
	v_add_co_u32 v2, vcc_lo, v18, s2
	s_wait_alu 0xfffd
	v_add_co_ci_u32_e32 v3, vcc_lo, s3, v19, vcc_lo
	ds_store_b64 v193, v[0:1] offset:5408
	s_wait_loadcnt 0x7
	v_mul_f32_e32 v0, v9, v26
	scratch_store_b64 off, v[21:22], off offset:12 ; 8-byte Folded Spill
	ds_store_2addr_b64 v193, v[16:17], v[4:5] offset1:52
	global_load_b64 v[10:11], v[10:11], off
	s_wait_loadcnt 0x6
	v_dual_mul_f32 v1, v8, v26 :: v_dual_mul_f32 v16, v14, v28
	global_load_b64 v[173:174], v193, s[8:9] offset:6656
	global_load_b64 v[4:5], v[2:3], off
	v_fmac_f32_e32 v0, v8, v25
	v_mul_f32_e32 v8, v15, v28
	v_fma_f32 v1, v9, v25, -v1
	global_load_b64 v[175:176], v193, s[8:9] offset:7072
	v_fma_f32 v9, v15, v27, -v16
	v_add_nc_u32_e32 v78, 0x1400, v193
	v_fmac_f32_e32 v8, v14, v27
	s_clause 0x1
	scratch_store_b64 off, v[25:26], off offset:28
	scratch_store_b64 off, v[27:28], off offset:36
	v_add_co_u32 v2, vcc_lo, v2, s4
	ds_store_2addr_b64 v78, v[0:1], v[8:9] offset0:88 offset1:140
	global_load_b64 v[177:178], v193, s[8:9] offset:1664
	global_load_b64 v[0:1], v[18:19], off
	v_add_nc_u32_e32 v110, 0x1800, v193
	s_wait_alu 0xfffd
	v_add_co_ci_u32_e32 v3, vcc_lo, s5, v3, vcc_lo
	v_add_nc_u32_e32 v112, 0x800, v193
	v_add_nc_u32_e32 v46, 0x2400, v193
	;; [unrolled: 1-line block ×5, first 2 shown]
	s_wait_loadcnt 0xa
	scratch_store_b64 off, v[35:36], off offset:128 ; 8-byte Folded Spill
	s_wait_loadcnt 0x9
	scratch_store_b64 off, v[33:34], off offset:120 ; 8-byte Folded Spill
	s_wait_loadcnt 0x7
	v_mul_f32_e32 v9, v6, v36
	v_mul_f32_e32 v8, v7, v36
	s_delay_alu instid0(VALU_DEP_2) | instskip(SKIP_1) | instid1(VALU_DEP_2)
	v_fma_f32 v9, v7, v35, -v9
	s_wait_loadcnt 0x6
	v_dual_fmac_f32 v8, v6, v35 :: v_dual_mul_f32 v7, v12, v34
	v_mul_f32_e32 v6, v13, v34
	s_delay_alu instid0(VALU_DEP_2) | instskip(NEXT) | instid1(VALU_DEP_2)
	v_fma_f32 v7, v13, v33, -v7
	v_fmac_f32_e32 v6, v12, v33
	ds_store_2addr_b64 v193, v[8:9], v[6:7] offset0:104 offset1:156
	s_wait_loadcnt 0x4
	v_mul_f32_e32 v7, v10, v174
	v_mul_f32_e32 v6, v11, v174
	s_clause 0x1
	global_load_b64 v[171:172], v193, s[8:9] offset:7488
	global_load_b64 v[12:13], v193, s[8:9] offset:7904
	s_wait_loadcnt 0x4
	v_mul_f32_e32 v8, v5, v176
	v_mul_f32_e32 v9, v4, v176
	v_fma_f32 v7, v11, v173, -v7
	v_fmac_f32_e32 v6, v10, v173
	s_delay_alu instid0(VALU_DEP_4) | instskip(NEXT) | instid1(VALU_DEP_4)
	v_fmac_f32_e32 v8, v4, v175
	v_fma_f32 v9, v5, v175, -v9
	s_wait_loadcnt 0x2
	v_mul_f32_e32 v4, v0, v178
	ds_store_2addr_b64 v110, v[6:7], v[8:9] offset0:64 offset1:116
	s_clause 0x2
	global_load_b64 v[179:180], v193, s[8:9] offset:2080
	global_load_b64 v[169:170], v193, s[8:9] offset:2496
	;; [unrolled: 1-line block ×3, first 2 shown]
	v_fma_f32 v5, v1, v177, -v4
	v_mul_f32_e32 v4, v1, v178
	s_delay_alu instid0(VALU_DEP_1)
	v_fmac_f32_e32 v4, v0, v177
	global_load_b64 v[0:1], v[2:3], off
	s_wait_loadcnt 0x4
	scratch_store_b64 off, v[12:13], off offset:160 ; 8-byte Folded Spill
	s_wait_loadcnt 0x1
	scratch_store_b64 off, v[9:10], off offset:168 ; 8-byte Folded Spill
	s_wait_loadcnt 0x0
	v_mul_f32_e32 v6, v0, v180
	s_delay_alu instid0(VALU_DEP_1) | instskip(SKIP_1) | instid1(VALU_DEP_1)
	v_fma_f32 v7, v1, v179, -v6
	v_mul_f32_e32 v6, v1, v180
	v_fmac_f32_e32 v6, v0, v179
	v_add_co_u32 v0, vcc_lo, v2, s2
	s_wait_alu 0xfffd
	v_add_co_ci_u32_e32 v1, vcc_lo, s3, v3, vcc_lo
	ds_store_2addr_b64 v111, v[4:5], v[6:7] offset0:80 offset1:132
	v_add_co_u32 v2, vcc_lo, v0, s4
	s_wait_alu 0xfffd
	v_add_co_ci_u32_e32 v3, vcc_lo, s5, v1, vcc_lo
	global_load_b64 v[0:1], v[0:1], off
	s_wait_loadcnt 0x0
	v_mul_f32_e32 v4, v0, v172
	s_delay_alu instid0(VALU_DEP_1) | instskip(SKIP_1) | instid1(VALU_DEP_1)
	v_fma_f32 v5, v1, v171, -v4
	v_mul_f32_e32 v4, v1, v172
	v_fmac_f32_e32 v4, v0, v171
	v_add_co_u32 v0, vcc_lo, v2, s2
	s_wait_alu 0xfffd
	v_add_co_ci_u32_e32 v1, vcc_lo, s3, v3, vcc_lo
	global_load_b64 v[2:3], v[2:3], off
	global_load_b64 v[6:7], v[0:1], off
	v_add_co_u32 v0, vcc_lo, v0, s4
	s_wait_alu 0xfffd
	v_add_co_ci_u32_e32 v1, vcc_lo, s5, v1, vcc_lo
	s_wait_loadcnt 0x0
	v_mul_f32_e32 v8, v6, v13
	s_delay_alu instid0(VALU_DEP_1) | instskip(SKIP_1) | instid1(VALU_DEP_1)
	v_fma_f32 v8, v7, v12, -v8
	v_mul_f32_e32 v7, v7, v13
	v_fmac_f32_e32 v7, v6, v12
	ds_store_2addr_b64 v110, v[4:5], v[7:8] offset0:168 offset1:220
	global_load_b64 v[5:6], v[0:1], off
	v_mul_f32_e32 v4, v2, v170
	v_add_co_u32 v0, vcc_lo, v0, s2
	s_wait_alu 0xfffd
	v_add_co_ci_u32_e32 v1, vcc_lo, s3, v1, vcc_lo
	s_delay_alu instid0(VALU_DEP_3) | instskip(SKIP_2) | instid1(VALU_DEP_1)
	v_fma_f32 v4, v3, v169, -v4
	v_mul_f32_e32 v3, v3, v170
	s_wait_loadcnt 0x0
	v_dual_fmac_f32 v3, v2, v169 :: v_dual_mul_f32 v2, v5, v10
	s_delay_alu instid0(VALU_DEP_1) | instskip(SKIP_2) | instid1(VALU_DEP_2)
	v_fma_f32 v7, v6, v9, -v2
	v_mul_f32_e32 v6, v6, v10
	v_add_co_u32 v2, vcc_lo, v0, s4
	v_fmac_f32_e32 v6, v5, v9
	ds_store_2addr_b64 v112, v[3:4], v[6:7] offset0:56 offset1:108
	s_wait_alu 0xfffd
	v_add_co_ci_u32_e32 v3, vcc_lo, s5, v1, vcc_lo
	global_load_b64 v[0:1], v[0:1], off
	s_clause 0x3
	global_load_b64 v[6:7], v193, s[8:9] offset:8320
	global_load_b64 v[13:14], v193, s[8:9] offset:8736
	;; [unrolled: 1-line block ×4, first 2 shown]
	s_wait_loadcnt 0x3
	v_mul_f32_e32 v4, v0, v7
	scratch_store_b64 off, v[6:7], off offset:152 ; 8-byte Folded Spill
	s_wait_loadcnt 0x2
	scratch_store_b64 off, v[13:14], off offset:136 ; 8-byte Folded Spill
	v_fma_f32 v5, v1, v6, -v4
	v_mul_f32_e32 v4, v1, v7
	s_delay_alu instid0(VALU_DEP_1)
	v_fmac_f32_e32 v4, v0, v6
	v_add_co_u32 v0, vcc_lo, v2, s2
	s_wait_alu 0xfffd
	v_add_co_ci_u32_e32 v1, vcc_lo, s3, v3, vcc_lo
	global_load_b64 v[6:7], v[0:1], off
	v_add_co_u32 v0, vcc_lo, v0, s4
	s_wait_alu 0xfffd
	v_add_co_ci_u32_e32 v1, vcc_lo, s5, v1, vcc_lo
	s_wait_loadcnt 0x0
	v_mul_f32_e32 v8, v6, v14
	s_delay_alu instid0(VALU_DEP_1) | instskip(SKIP_1) | instid1(VALU_DEP_1)
	v_fma_f32 v8, v7, v13, -v8
	v_mul_f32_e32 v7, v7, v14
	v_fmac_f32_e32 v7, v6, v13
	ds_store_2addr_b64 v181, v[4:5], v[7:8] offset0:16 offset1:68
	global_load_b64 v[2:3], v[2:3], off
	s_clause 0x3
	global_load_b64 v[5:6], v193, s[8:9] offset:3328
	global_load_b64 v[17:18], v193, s[8:9] offset:3744
	;; [unrolled: 1-line block ×4, first 2 shown]
	s_clause 0x1
	scratch_store_b64 off, v[11:12], off offset:72
	scratch_store_b64 off, v[9:10], off offset:64
	s_wait_loadcnt 0x3
	v_mul_f32_e32 v4, v2, v6
	scratch_store_b64 off, v[5:6], off offset:144 ; 8-byte Folded Spill
	s_wait_loadcnt 0x2
	scratch_store_b64 off, v[17:18], off offset:112 ; 8-byte Folded Spill
	s_wait_loadcnt 0x1
	;; [unrolled: 2-line block ×3, first 2 shown]
	scratch_store_b64 off, v[13:14], off offset:88 ; 8-byte Folded Spill
	v_fma_f32 v4, v3, v5, -v4
	v_mul_f32_e32 v3, v3, v6
	s_delay_alu instid0(VALU_DEP_1)
	v_fmac_f32_e32 v3, v2, v5
	global_load_b64 v[5:6], v[0:1], off
	v_add_co_u32 v0, vcc_lo, v0, s2
	s_wait_alu 0xfffd
	v_add_co_ci_u32_e32 v1, vcc_lo, s3, v1, vcc_lo
	s_wait_loadcnt 0x0
	v_mul_f32_e32 v2, v5, v18
	s_delay_alu instid0(VALU_DEP_1) | instskip(SKIP_2) | instid1(VALU_DEP_2)
	v_fma_f32 v7, v6, v17, -v2
	v_mul_f32_e32 v6, v6, v18
	v_add_co_u32 v2, vcc_lo, v0, s4
	v_fmac_f32_e32 v6, v5, v17
	ds_store_2addr_b64 v112, v[3:4], v[6:7] offset0:160 offset1:212
	s_wait_alu 0xfffd
	v_add_co_ci_u32_e32 v3, vcc_lo, s5, v1, vcc_lo
	global_load_b64 v[0:1], v[0:1], off
	s_wait_loadcnt 0x0
	v_mul_f32_e32 v4, v0, v12
	s_delay_alu instid0(VALU_DEP_1) | instskip(SKIP_1) | instid1(VALU_DEP_1)
	v_fma_f32 v5, v1, v11, -v4
	v_mul_f32_e32 v4, v1, v12
	v_fmac_f32_e32 v4, v0, v11
	v_add_co_u32 v0, vcc_lo, v2, s2
	s_wait_alu 0xfffd
	v_add_co_ci_u32_e32 v1, vcc_lo, s3, v3, vcc_lo
	global_load_b64 v[2:3], v[2:3], off
	global_load_b64 v[6:7], v[0:1], off
	v_add_co_u32 v0, vcc_lo, v0, s4
	s_wait_alu 0xfffd
	v_add_co_ci_u32_e32 v1, vcc_lo, s5, v1, vcc_lo
	s_wait_loadcnt 0x0
	v_mul_f32_e32 v8, v6, v10
	s_delay_alu instid0(VALU_DEP_1) | instskip(SKIP_1) | instid1(VALU_DEP_1)
	v_fma_f32 v8, v7, v9, -v8
	v_mul_f32_e32 v7, v7, v10
	v_fmac_f32_e32 v7, v6, v9
	ds_store_2addr_b64 v181, v[4:5], v[7:8] offset0:120 offset1:172
	global_load_b64 v[5:6], v[0:1], off
	v_mul_f32_e32 v4, v2, v16
	v_add_co_u32 v0, vcc_lo, v0, s2
	s_wait_alu 0xfffd
	v_add_co_ci_u32_e32 v1, vcc_lo, s3, v1, vcc_lo
	s_delay_alu instid0(VALU_DEP_3) | instskip(SKIP_2) | instid1(VALU_DEP_1)
	v_fma_f32 v4, v3, v15, -v4
	v_mul_f32_e32 v3, v3, v16
	s_wait_loadcnt 0x0
	v_dual_fmac_f32 v3, v2, v15 :: v_dual_mul_f32 v2, v5, v14
	s_delay_alu instid0(VALU_DEP_1) | instskip(SKIP_2) | instid1(VALU_DEP_2)
	v_fma_f32 v7, v6, v13, -v2
	v_mul_f32_e32 v6, v6, v14
	v_add_co_u32 v2, vcc_lo, v0, s4
	v_fmac_f32_e32 v6, v5, v13
	ds_store_2addr_b64 v113, v[3:4], v[6:7] offset0:8 offset1:60
	s_wait_alu 0xfffd
	v_add_co_ci_u32_e32 v3, vcc_lo, s5, v1, vcc_lo
	global_load_b64 v[0:1], v[0:1], off
	s_clause 0x1
	global_load_b64 v[6:7], v193, s[8:9] offset:9984
	global_load_b64 v[8:9], v193, s[8:9] offset:10400
	s_load_b128 s[4:7], s[6:7], 0x0
	scratch_store_b64 off, v[31:32], off offset:52 ; 8-byte Folded Spill
	s_wait_loadcnt 0x1
	v_mul_f32_e32 v4, v0, v7
	scratch_store_b64 off, v[6:7], off offset:96 ; 8-byte Folded Spill
	s_wait_loadcnt 0x0
	scratch_store_b64 off, v[8:9], off offset:80 ; 8-byte Folded Spill
	v_fma_f32 v5, v1, v6, -v4
	v_mul_f32_e32 v4, v1, v7
	s_delay_alu instid0(VALU_DEP_1)
	v_fmac_f32_e32 v4, v0, v6
	v_add_co_u32 v0, vcc_lo, v2, s2
	s_wait_alu 0xfffd
	v_add_co_ci_u32_e32 v1, vcc_lo, s3, v3, vcc_lo
	v_cmp_gt_u16_e32 vcc_lo, 26, v76
	global_load_b64 v[0:1], v[0:1], off
	s_wait_loadcnt 0x0
	v_mul_f32_e32 v6, v0, v9
	s_delay_alu instid0(VALU_DEP_1) | instskip(SKIP_1) | instid1(VALU_DEP_1)
	v_fma_f32 v7, v1, v8, -v6
	v_mul_f32_e32 v6, v1, v9
	v_fmac_f32_e32 v6, v0, v8
	global_load_b64 v[0:1], v[2:3], off
	ds_store_2addr_b64 v46, v[4:5], v[6:7] offset0:96 offset1:148
	s_wait_loadcnt 0x0
	v_mul_f32_e32 v2, v0, v32
	s_delay_alu instid0(VALU_DEP_1) | instskip(SKIP_1) | instid1(VALU_DEP_1)
	v_fma_f32 v2, v1, v31, -v2
	v_mul_f32_e32 v1, v1, v32
	v_fmac_f32_e32 v1, v0, v31
	ds_store_b64 v193, v[1:2] offset:4992
	global_wb scope:SCOPE_SE
	s_wait_storecnt_dscnt 0x0
	s_wait_kmcnt 0x0
	s_barrier_signal -1
	s_barrier_wait -1
	global_inv scope:SCOPE_SE
	ds_load_2addr_b64 v[0:3], v193 offset1:52
	ds_load_2addr_b64 v[4:7], v78 offset0:88 offset1:140
	ds_load_2addr_b64 v[8:11], v193 offset0:104 offset1:156
	ds_load_2addr_b64 v[16:19], v110 offset0:64 offset1:116
	ds_load_2addr_b64 v[22:25], v111 offset0:80 offset1:132
	ds_load_2addr_b64 v[34:37], v112 offset0:56 offset1:108
	ds_load_2addr_b64 v[47:50], v112 offset0:160 offset1:212
	ds_load_2addr_b64 v[59:62], v113 offset0:8 offset1:60
	ds_load_2addr_b64 v[71:74], v113 offset0:112 offset1:164
	s_wait_dscnt 0x7
	v_dual_sub_f32 v4, v2, v4 :: v_dual_sub_f32 v5, v3, v5
	s_wait_dscnt 0x5
	v_dual_sub_f32 v20, v10, v16 :: v_dual_sub_f32 v21, v11, v17
	;; [unrolled: 2-line block ×3, first 2 shown]
	ds_load_2addr_b64 v[16:19], v110 offset0:168 offset1:220
	s_wait_dscnt 0x1
	v_sub_f32_e32 v85, v0, v73
	v_dual_sub_f32 v14, v8, v6 :: v_dual_sub_f32 v15, v9, v7
	v_sub_f32_e32 v86, v1, v74
	v_fma_f32 v2, v2, 2.0, -v4
	s_delay_alu instid0(VALU_DEP_4)
	v_fma_f32 v83, v0, 2.0, -v85
	v_lshlrev_b16 v0, 1, v76
	v_fma_f32 v3, v3, 2.0, -v5
	v_fma_f32 v84, v1, 2.0, -v86
	;; [unrolled: 1-line block ×4, first 2 shown]
	v_and_b32_e32 v0, 0xffff, v0
	v_fma_f32 v26, v22, 2.0, -v28
	v_fma_f32 v27, v23, 2.0, -v29
	s_delay_alu instid0(VALU_DEP_3)
	v_lshlrev_b32_e32 v161, 3, v0
	s_wait_dscnt 0x0
	v_dual_sub_f32 v32, v24, v16 :: v_dual_sub_f32 v33, v25, v17
	v_dual_sub_f32 v40, v34, v18 :: v_dual_sub_f32 v41, v35, v19
	ds_load_2addr_b64 v[16:19], v181 offset0:16 offset1:68
	v_fma_f32 v30, v24, 2.0, -v32
	v_fma_f32 v31, v25, 2.0, -v33
	v_fma_f32 v38, v34, 2.0, -v40
	v_fma_f32 v39, v35, 2.0, -v41
	s_wait_dscnt 0x0
	v_dual_sub_f32 v44, v36, v16 :: v_dual_sub_f32 v45, v37, v17
	v_dual_sub_f32 v53, v47, v18 :: v_dual_sub_f32 v54, v48, v19
	ds_load_2addr_b64 v[16:19], v181 offset0:120 offset1:172
	v_fma_f32 v42, v36, 2.0, -v44
	v_fma_f32 v43, v37, 2.0, -v45
	v_fma_f32 v51, v47, 2.0, -v53
	v_fma_f32 v52, v48, 2.0, -v54
	;; [unrolled: 8-line block ×3, first 2 shown]
	global_wb scope:SCOPE_SE
	s_wait_dscnt 0x0
	s_barrier_signal -1
	s_barrier_wait -1
	global_inv scope:SCOPE_SE
	ds_store_b128 v161, v[83:86]
	ds_store_b128 v160, v[2:5]
	v_dual_sub_f32 v69, v61, v16 :: v_dual_sub_f32 v70, v62, v17
	v_dual_sub_f32 v81, v71, v18 :: v_dual_sub_f32 v82, v72, v19
	v_fma_f32 v18, v10, 2.0, -v20
	v_fma_f32 v19, v11, 2.0, -v21
	s_delay_alu instid0(VALU_DEP_4)
	v_fma_f32 v67, v61, 2.0, -v69
	v_fma_f32 v68, v62, 2.0, -v70
	;; [unrolled: 1-line block ×4, first 2 shown]
	ds_store_b128 v202, v[12:15] offset:1664
	ds_store_b128 v202, v[18:21] offset:2496
	;; [unrolled: 1-line block ×11, first 2 shown]
	v_and_b32_e32 v28, 1, v159
	global_wb scope:SCOPE_SE
	s_wait_dscnt 0x0
	s_barrier_signal -1
	s_barrier_wait -1
	global_inv scope:SCOPE_SE
	v_mul_u32_u24_e32 v0, 12, v28
	s_delay_alu instid0(VALU_DEP_1)
	v_lshlrev_b32_e32 v20, 3, v0
	s_clause 0x1
	global_load_b128 v[0:3], v20, s[10:11]
	global_load_b128 v[4:7], v20, s[10:11] offset:16
	ds_load_2addr_b64 v[8:11], v193 offset0:104 offset1:156
	s_wait_loadcnt_dscnt 0x100
	v_mul_f32_e32 v12, v9, v1
	v_mul_f32_e32 v25, v8, v1
	;; [unrolled: 1-line block ×3, first 2 shown]
	s_delay_alu instid0(VALU_DEP_3) | instskip(NEXT) | instid1(VALU_DEP_3)
	v_fma_f32 v24, v8, v0, -v12
	v_dual_mul_f32 v8, v11, v1 :: v_dual_fmac_f32 v25, v9, v0
	s_delay_alu instid0(VALU_DEP_3) | instskip(NEXT) | instid1(VALU_DEP_2)
	v_fmac_f32_e32 v27, v11, v0
	v_fma_f32 v26, v10, v0, -v8
	ds_load_2addr_b64 v[8:11], v111 offset0:80 offset1:132
	s_wait_dscnt 0x0
	v_mul_f32_e32 v12, v9, v3
	v_mul_f32_e32 v53, v8, v3
	;; [unrolled: 1-line block ×3, first 2 shown]
	s_delay_alu instid0(VALU_DEP_3) | instskip(NEXT) | instid1(VALU_DEP_3)
	v_fma_f32 v52, v8, v2, -v12
	v_dual_mul_f32 v8, v11, v3 :: v_dual_fmac_f32 v53, v9, v2
	s_delay_alu instid0(VALU_DEP_3) | instskip(NEXT) | instid1(VALU_DEP_2)
	v_fmac_f32_e32 v32, v11, v2
	v_fma_f32 v34, v10, v2, -v8
	ds_load_2addr_b64 v[8:11], v112 offset0:56 offset1:108
	s_wait_loadcnt_dscnt 0x0
	v_mul_f32_e32 v12, v9, v5
	v_mul_f32_e32 v55, v8, v5
	;; [unrolled: 1-line block ×3, first 2 shown]
	s_delay_alu instid0(VALU_DEP_3) | instskip(NEXT) | instid1(VALU_DEP_3)
	v_fma_f32 v54, v8, v4, -v12
	v_dual_mul_f32 v8, v11, v5 :: v_dual_fmac_f32 v55, v9, v4
	s_delay_alu instid0(VALU_DEP_3) | instskip(NEXT) | instid1(VALU_DEP_2)
	v_fmac_f32_e32 v30, v11, v4
	v_fma_f32 v33, v10, v4, -v8
	ds_load_2addr_b64 v[8:11], v112 offset0:160 offset1:212
	s_wait_dscnt 0x0
	v_mul_f32_e32 v12, v9, v7
	v_mul_f32_e32 v57, v8, v7
	;; [unrolled: 1-line block ×3, first 2 shown]
	s_delay_alu instid0(VALU_DEP_3) | instskip(NEXT) | instid1(VALU_DEP_3)
	v_fma_f32 v56, v8, v6, -v12
	v_dual_mul_f32 v8, v11, v7 :: v_dual_fmac_f32 v57, v9, v6
	s_delay_alu instid0(VALU_DEP_3) | instskip(NEXT) | instid1(VALU_DEP_2)
	v_fmac_f32_e32 v29, v11, v6
	v_fma_f32 v31, v10, v6, -v8
	s_clause 0x1
	global_load_b128 v[8:11], v20, s[10:11] offset:32
	global_load_b128 v[12:15], v20, s[10:11] offset:48
	ds_load_2addr_b64 v[16:19], v113 offset0:8 offset1:60
	s_wait_loadcnt_dscnt 0x100
	v_mul_f32_e32 v21, v17, v9
	v_mul_f32_e32 v59, v16, v9
	;; [unrolled: 1-line block ×3, first 2 shown]
	s_delay_alu instid0(VALU_DEP_3) | instskip(NEXT) | instid1(VALU_DEP_3)
	v_fma_f32 v58, v16, v8, -v21
	v_dual_mul_f32 v16, v19, v9 :: v_dual_fmac_f32 v59, v17, v8
	s_delay_alu instid0(VALU_DEP_3) | instskip(NEXT) | instid1(VALU_DEP_2)
	v_fmac_f32_e32 v36, v19, v8
	v_fma_f32 v38, v18, v8, -v16
	ds_load_2addr_b64 v[16:19], v113 offset0:112 offset1:164
	s_wait_dscnt 0x0
	v_mul_f32_e32 v21, v17, v11
	v_mul_f32_e32 v61, v16, v11
	;; [unrolled: 1-line block ×3, first 2 shown]
	s_delay_alu instid0(VALU_DEP_3) | instskip(NEXT) | instid1(VALU_DEP_3)
	v_fma_f32 v60, v16, v10, -v21
	v_dual_mul_f32 v16, v19, v11 :: v_dual_fmac_f32 v61, v17, v10
	s_delay_alu instid0(VALU_DEP_3) | instskip(NEXT) | instid1(VALU_DEP_2)
	v_fmac_f32_e32 v35, v19, v10
	v_fma_f32 v37, v18, v10, -v16
	ds_load_2addr_b64 v[16:19], v78 offset0:88 offset1:140
	s_wait_loadcnt_dscnt 0x0
	v_mul_f32_e32 v21, v17, v13
	v_mul_f32_e32 v63, v16, v13
	;; [unrolled: 1-line block ×3, first 2 shown]
	s_delay_alu instid0(VALU_DEP_3) | instskip(NEXT) | instid1(VALU_DEP_3)
	v_fma_f32 v62, v16, v12, -v21
	v_dual_mul_f32 v16, v19, v13 :: v_dual_fmac_f32 v63, v17, v12
	s_delay_alu instid0(VALU_DEP_3) | instskip(NEXT) | instid1(VALU_DEP_3)
	v_fmac_f32_e32 v39, v19, v12
	v_sub_f32_e32 v221, v60, v62
	s_delay_alu instid0(VALU_DEP_3)
	v_fma_f32 v40, v18, v12, -v16
	ds_load_2addr_b64 v[16:19], v110 offset0:64 offset1:116
	v_mul_f32_e32 v191, 0x3eedf032, v221
	v_mul_f32_e32 v209, 0xbf29c268, v221
	s_wait_dscnt 0x0
	v_mul_f32_e32 v21, v17, v15
	v_mul_f32_e32 v65, v16, v15
	;; [unrolled: 1-line block ×3, first 2 shown]
	s_delay_alu instid0(VALU_DEP_3) | instskip(NEXT) | instid1(VALU_DEP_3)
	v_fma_f32 v64, v16, v14, -v21
	v_dual_mul_f32 v16, v19, v15 :: v_dual_fmac_f32 v65, v17, v14
	s_delay_alu instid0(VALU_DEP_3) | instskip(NEXT) | instid1(VALU_DEP_3)
	v_fmac_f32_e32 v41, v19, v14
	v_sub_f32_e32 v219, v58, v64
	s_delay_alu instid0(VALU_DEP_3)
	v_fma_f32 v42, v18, v14, -v16
	s_clause 0x1
	global_load_b128 v[16:19], v20, s[10:11] offset:64
	global_load_b128 v[20:23], v20, s[10:11] offset:80
	ds_load_2addr_b64 v[47:50], v110 offset0:168 offset1:220
	ds_load_2addr_b64 v[79:82], v46 offset0:96 offset1:148
	v_sub_f32_e32 v218, v59, v65
	v_mul_f32_e32 v188, 0x3f7e222b, v219
	s_wait_loadcnt_dscnt 0x101
	v_dual_mul_f32 v206, 0xbf52af12, v219 :: v_dual_mul_f32 v43, v48, v17
	v_mul_f32_e32 v67, v47, v17
	s_wait_loadcnt_dscnt 0x0
	v_mul_f32_e32 v73, v79, v23
	s_delay_alu instid0(VALU_DEP_3) | instskip(SKIP_2) | instid1(VALU_DEP_4)
	v_fma_f32 v66, v47, v16, -v43
	v_mul_f32_e32 v43, v50, v17
	v_fmac_f32_e32 v67, v48, v16
	v_fmac_f32_e32 v73, v80, v22
	s_delay_alu instid0(VALU_DEP_4) | instskip(NEXT) | instid1(VALU_DEP_4)
	v_sub_f32_e32 v217, v56, v66
	v_fma_f32 v44, v49, v16, -v43
	v_mul_f32_e32 v43, v49, v17
	s_delay_alu instid0(VALU_DEP_4) | instskip(SKIP_2) | instid1(VALU_DEP_4)
	v_sub_f32_e32 v74, v25, v73
	v_sub_f32_e32 v216, v57, v67
	v_dual_sub_f32 v220, v61, v63 :: v_dual_mul_f32 v203, 0x3eedf032, v217
	v_fmac_f32_e32 v43, v50, v16
	ds_load_2addr_b64 v[47:50], v181 offset0:16 offset1:68
	v_mul_f32_e32 v75, 0xbf29c268, v74
	v_mul_f32_e32 v189, 0x3eedf032, v220
	s_wait_dscnt 0x0
	v_mul_f32_e32 v45, v48, v19
	v_mul_f32_e32 v69, v47, v19
	s_delay_alu instid0(VALU_DEP_2) | instskip(SKIP_1) | instid1(VALU_DEP_3)
	v_fma_f32 v68, v47, v18, -v45
	v_mul_f32_e32 v45, v50, v19
	v_fmac_f32_e32 v69, v48, v18
	s_delay_alu instid0(VALU_DEP_3) | instskip(NEXT) | instid1(VALU_DEP_3)
	v_sub_f32_e32 v215, v54, v68
	v_fma_f32 v47, v49, v18, -v45
	s_delay_alu instid0(VALU_DEP_3) | instskip(NEXT) | instid1(VALU_DEP_1)
	v_dual_mul_f32 v45, v49, v19 :: v_dual_sub_f32 v214, v55, v69
	v_dual_mul_f32 v198, 0x3f6f5d39, v215 :: v_dual_fmac_f32 v45, v50, v18
	ds_load_2addr_b64 v[48:51], v181 offset0:120 offset1:172
	s_wait_dscnt 0x0
	v_mul_f32_e32 v70, v49, v21
	v_mul_f32_e32 v71, v48, v21
	s_delay_alu instid0(VALU_DEP_2) | instskip(NEXT) | instid1(VALU_DEP_2)
	v_fma_f32 v70, v48, v20, -v70
	v_dual_mul_f32 v48, v51, v21 :: v_dual_fmac_f32 v71, v49, v20
	s_delay_alu instid0(VALU_DEP_2) | instskip(NEXT) | instid1(VALU_DEP_2)
	v_sub_f32_e32 v213, v52, v70
	v_fma_f32 v49, v50, v20, -v48
	v_mul_f32_e32 v48, v50, v21
	v_mul_f32_e32 v50, v80, v23
	;; [unrolled: 1-line block ×4, first 2 shown]
	s_delay_alu instid0(VALU_DEP_3) | instskip(SKIP_1) | instid1(VALU_DEP_2)
	v_fma_f32 v72, v79, v22, -v50
	v_dual_mul_f32 v50, v82, v23 :: v_dual_mul_f32 v79, 0xbf6f5d39, v74
	v_add_f32_e32 v89, v24, v72
	v_dual_fmac_f32 v48, v51, v20 :: v_dual_mul_f32 v51, v81, v23
	s_delay_alu instid0(VALU_DEP_3) | instskip(SKIP_1) | instid1(VALU_DEP_4)
	v_fma_f32 v50, v81, v22, -v50
	v_mul_f32_e32 v81, 0xbf52af12, v74
	v_fma_f32 v85, 0x3df6dbef, v89, -v80
	s_delay_alu instid0(VALU_DEP_4)
	v_dual_fmac_f32 v80, 0x3df6dbef, v89 :: v_dual_fmac_f32 v51, v82, v22
	v_mul_f32_e32 v82, 0xbeedf032, v74
	v_mul_f32_e32 v74, 0xbe750f2a, v74
	v_fma_f32 v84, 0x3f116cb1, v89, -v81
	v_fmac_f32_e32 v81, 0x3f116cb1, v89
	v_fma_f32 v86, 0xbeb58ec6, v89, -v79
	v_fma_f32 v83, 0x3f62ad3f, v89, -v82
	v_fmac_f32_e32 v82, 0x3f62ad3f, v89
	v_fmac_f32_e32 v79, 0xbeb58ec6, v89
	v_fma_f32 v87, 0xbf3f9e67, v89, -v75
	v_fmac_f32_e32 v75, 0xbf3f9e67, v89
	v_fma_f32 v88, 0xbf788fa5, v89, -v74
	v_dual_fmac_f32 v74, 0xbf788fa5, v89 :: v_dual_sub_f32 v89, v24, v72
	v_dual_add_f32 v107, v27, v51 :: v_dual_add_f32 v102, v25, v73
	s_delay_alu instid0(VALU_DEP_2) | instskip(SKIP_3) | instid1(VALU_DEP_4)
	v_mul_f32_e32 v91, 0xbf52af12, v89
	v_mul_f32_e32 v101, 0xbf29c268, v89
	;; [unrolled: 1-line block ×4, first 2 shown]
	v_fmamk_f32 v98, v102, 0x3f116cb1, v91
	v_mul_f32_e32 v92, 0xbf7e222b, v89
	v_fma_f32 v97, 0x3f116cb1, v102, -v91
	v_fma_f32 v91, 0xbf3f9e67, v102, -v101
	v_mul_f32_e32 v89, 0xbe750f2a, v89
	s_delay_alu instid0(VALU_DEP_4) | instskip(SKIP_2) | instid1(VALU_DEP_1)
	v_fmamk_f32 v96, v102, 0x3df6dbef, v92
	v_fma_f32 v95, 0x3df6dbef, v102, -v92
	v_dual_fmamk_f32 v92, v102, 0xbf3f9e67, v101 :: v_dual_sub_f32 v101, v27, v51
	v_mul_f32_e32 v109, 0xbeedf032, v101
	v_mul_f32_e32 v114, 0xbf52af12, v101
	;; [unrolled: 1-line block ×5, first 2 shown]
	v_dual_mul_f32 v118, 0xbe750f2a, v101 :: v_dual_add_f32 v101, v26, v50
	s_delay_alu instid0(VALU_DEP_1)
	v_fma_f32 v127, 0x3f62ad3f, v101, -v109
	v_fmac_f32_e32 v109, 0x3f62ad3f, v101
	v_fma_f32 v128, 0x3f116cb1, v101, -v114
	v_fmac_f32_e32 v114, 0x3f116cb1, v101
	;; [unrolled: 2-line block ×5, first 2 shown]
	v_fma_f32 v132, 0xbf788fa5, v101, -v118
	v_dual_fmac_f32 v118, 0xbf788fa5, v101 :: v_dual_sub_f32 v101, v26, v50
	s_delay_alu instid0(VALU_DEP_1) | instskip(NEXT) | instid1(VALU_DEP_1)
	v_mul_f32_e32 v103, 0xbf52af12, v101
	v_fmamk_f32 v135, v107, 0x3f116cb1, v103
	v_fmamk_f32 v94, v102, 0xbeb58ec6, v93
	v_mul_f32_e32 v105, 0xbf6f5d39, v101
	v_fmamk_f32 v100, v102, 0x3f62ad3f, v90
	v_fma_f32 v99, 0x3f62ad3f, v102, -v90
	v_fma_f32 v93, 0xbeb58ec6, v102, -v93
	v_fmamk_f32 v90, v102, 0xbf788fa5, v89
	v_fmamk_f32 v182, v107, 0xbeb58ec6, v105
	v_mul_f32_e32 v104, 0xbf7e222b, v101
	v_fma_f32 v89, 0xbf788fa5, v102, -v89
	v_fma_f32 v183, 0xbeb58ec6, v107, -v105
	v_mul_f32_e32 v106, 0xbf29c268, v101
	v_fma_f32 v136, 0x3f116cb1, v107, -v103
	v_fma_f32 v138, 0x3df6dbef, v107, -v104
	v_mul_f32_e32 v102, 0xbeedf032, v101
	v_mul_f32_e32 v101, 0xbe750f2a, v101
	v_fmamk_f32 v137, v107, 0x3df6dbef, v104
	v_fmamk_f32 v184, v107, 0xbf3f9e67, v106
	v_fma_f32 v185, 0xbf3f9e67, v107, -v106
	v_fmamk_f32 v133, v107, 0x3f62ad3f, v102
	v_fma_f32 v134, 0x3f62ad3f, v107, -v102
	;; [unrolled: 2-line block ×3, first 2 shown]
	ds_load_2addr_b64 v[105:108], v193 offset1:52
	global_wb scope:SCOPE_SE
	s_wait_dscnt 0x0
	s_barrier_signal -1
	s_barrier_wait -1
	global_inv scope:SCOPE_SE
	v_add_f32_e32 v211, v106, v93
	v_dual_add_f32 v124, v106, v25 :: v_dual_add_f32 v227, v105, v87
	v_dual_add_f32 v25, v106, v98 :: v_dual_sub_f32 v210, v53, v71
	v_add_f32_e32 v123, v105, v24
	v_dual_add_f32 v101, v107, v26 :: v_dual_add_f32 v126, v105, v83
	v_add_f32_e32 v103, v105, v82
	v_add_f32_e32 v24, v105, v84
	;; [unrolled: 1-line block ×6, first 2 shown]
	v_dual_add_f32 v125, v106, v100 :: v_dual_add_f32 v212, v105, v79
	v_dual_add_f32 v208, v105, v75 :: v_dual_add_f32 v83, v108, v185
	v_add_f32_e32 v225, v105, v88
	v_dual_add_f32 v223, v105, v74 :: v_dual_add_f32 v100, v107, v127
	v_dual_add_f32 v105, v52, v70 :: v_dual_add_f32 v74, v107, v109
	v_dual_mul_f32 v127, 0xbf6f5d39, v210 :: v_dual_add_f32 v102, v108, v27
	v_add_f32_e32 v104, v106, v99
	v_add_f32_e32 v121, v106, v97
	;; [unrolled: 1-line block ×5, first 2 shown]
	v_dual_add_f32 v226, v106, v92 :: v_dual_add_f32 v95, v108, v137
	v_add_f32_e32 v207, v106, v91
	v_dual_add_f32 v222, v106, v89 :: v_dual_add_f32 v89, v108, v186
	v_dual_add_f32 v99, v108, v133 :: v_dual_add_f32 v224, v106, v90
	;; [unrolled: 1-line block ×3, first 2 shown]
	v_add_f32_e32 v90, v107, v132
	v_fma_f32 v106, 0xbeb58ec6, v105, -v127
	v_add_f32_e32 v94, v107, v130
	v_dual_add_f32 v93, v108, v182 :: v_dual_mul_f32 v182, 0xbf6f5d39, v213
	v_mul_f32_e32 v186, 0x3f29c268, v217
	s_delay_alu instid0(VALU_DEP_4)
	v_add_f32_e32 v24, v106, v24
	v_dual_add_f32 v106, v53, v71 :: v_dual_add_f32 v75, v108, v134
	v_dual_add_f32 v97, v108, v135 :: v_dual_add_f32 v82, v107, v114
	;; [unrolled: 1-line block ×4, first 2 shown]
	v_add_f32_e32 v84, v107, v117
	v_dual_add_f32 v88, v107, v118 :: v_dual_mul_f32 v185, 0x3f29c268, v216
	v_mul_f32_e32 v184, 0xbe750f2a, v215
	v_dual_add_f32 v86, v107, v116 :: v_dual_mul_f32 v187, 0x3f7e222b, v218
	v_dual_add_f32 v80, v107, v115 :: v_dual_fmamk_f32 v107, v106, 0xbeb58ec6, v182
	v_add_f32_e32 v85, v108, v183
	v_mul_f32_e32 v183, 0xbe750f2a, v214
	v_add_f32_e32 v79, v108, v138
	v_mul_f32_e32 v197, 0x3f6f5d39, v214
	v_add_f32_e32 v25, v107, v25
	v_dual_add_f32 v107, v54, v68 :: v_dual_mul_f32 v190, 0xbe750f2a, v210
	v_mul_f32_e32 v204, 0xbf52af12, v218
	v_mul_f32_e32 v129, 0x3f29c268, v213
	;; [unrolled: 1-line block ×3, first 2 shown]
	s_delay_alu instid0(VALU_DEP_4)
	v_fma_f32 v108, 0xbf788fa5, v107, -v183
	v_mul_f32_e32 v130, 0x3eedf032, v214
	v_mul_f32_e32 v133, 0xbf7e222b, v217
	;; [unrolled: 1-line block ×4, first 2 shown]
	v_add_f32_e32 v24, v108, v24
	v_add_f32_e32 v108, v55, v69
	v_mul_f32_e32 v137, 0x3f52af12, v221
	v_mul_f32_e32 v195, 0xbf52af12, v214
	v_fmac_f32_e32 v127, 0xbeb58ec6, v105
	v_fmac_f32_e32 v183, 0xbf788fa5, v107
	v_fmamk_f32 v109, v108, 0xbf788fa5, v184
	s_delay_alu instid0(VALU_DEP_1) | instskip(SKIP_1) | instid1(VALU_DEP_1)
	v_add_f32_e32 v25, v109, v25
	v_add_f32_e32 v109, v56, v66
	v_fma_f32 v114, 0xbf3f9e67, v109, -v185
	s_delay_alu instid0(VALU_DEP_1) | instskip(SKIP_1) | instid1(VALU_DEP_1)
	v_dual_fmac_f32 v185, 0xbf3f9e67, v109 :: v_dual_add_f32 v24, v114, v24
	v_add_f32_e32 v114, v57, v67
	v_fmamk_f32 v115, v114, 0xbf3f9e67, v186
	s_delay_alu instid0(VALU_DEP_1) | instskip(SKIP_1) | instid1(VALU_DEP_1)
	v_add_f32_e32 v25, v115, v25
	v_add_f32_e32 v115, v58, v64
	v_fma_f32 v116, 0x3df6dbef, v115, -v187
	s_delay_alu instid0(VALU_DEP_1) | instskip(SKIP_1) | instid1(VALU_DEP_1)
	v_dual_fmac_f32 v187, 0x3df6dbef, v115 :: v_dual_add_f32 v24, v116, v24
	v_add_f32_e32 v116, v59, v65
	v_fmamk_f32 v117, v116, 0x3df6dbef, v188
	v_mul_f32_e32 v199, 0x3eedf032, v216
	v_mul_f32_e32 v205, 0xbf29c268, v220
	;; [unrolled: 1-line block ×3, first 2 shown]
	s_delay_alu instid0(VALU_DEP_4) | instskip(SKIP_2) | instid1(VALU_DEP_2)
	v_dual_mul_f32 v134, 0x3e750f2a, v218 :: v_dual_add_f32 v25, v117, v25
	v_dual_add_f32 v117, v60, v62 :: v_dual_mul_f32 v136, 0x3f52af12, v220
	v_mul_f32_e32 v138, 0x3f7e222b, v210
	v_fma_f32 v118, 0x3f62ad3f, v117, -v189
	s_delay_alu instid0(VALU_DEP_1) | instskip(SKIP_1) | instid1(VALU_DEP_1)
	v_dual_fmac_f32 v189, 0x3f62ad3f, v117 :: v_dual_add_f32 v24, v118, v24
	v_add_f32_e32 v118, v61, v63
	v_fmamk_f32 v128, v118, 0x3f62ad3f, v191
	s_delay_alu instid0(VALU_DEP_1) | instskip(SKIP_1) | instid1(VALU_DEP_1)
	v_add_f32_e32 v25, v128, v25
	v_fma_f32 v128, 0xbf788fa5, v105, -v190
	v_add_f32_e32 v26, v128, v26
	v_fmamk_f32 v128, v106, 0xbf788fa5, v192
	s_delay_alu instid0(VALU_DEP_1) | instskip(SKIP_1) | instid1(VALU_DEP_1)
	v_add_f32_e32 v27, v128, v27
	v_fma_f32 v128, 0xbeb58ec6, v107, -v197
	v_dual_fmac_f32 v197, 0xbeb58ec6, v107 :: v_dual_add_f32 v26, v128, v26
	v_fmamk_f32 v128, v108, 0xbeb58ec6, v198
	s_delay_alu instid0(VALU_DEP_1) | instskip(SKIP_1) | instid1(VALU_DEP_1)
	v_add_f32_e32 v27, v128, v27
	v_fma_f32 v128, 0x3f62ad3f, v109, -v199
	v_dual_fmac_f32 v199, 0x3f62ad3f, v109 :: v_dual_add_f32 v26, v128, v26
	v_fmamk_f32 v128, v114, 0x3f62ad3f, v203
	s_delay_alu instid0(VALU_DEP_1) | instskip(SKIP_1) | instid1(VALU_DEP_1)
	v_add_f32_e32 v27, v128, v27
	v_fma_f32 v128, 0x3f116cb1, v115, -v204
	v_add_f32_e32 v26, v128, v26
	v_fmamk_f32 v128, v116, 0x3f116cb1, v206
	s_delay_alu instid0(VALU_DEP_1) | instskip(SKIP_1) | instid1(VALU_DEP_1)
	v_add_f32_e32 v27, v128, v27
	v_fma_f32 v128, 0xbf3f9e67, v117, -v205
	v_dual_fmac_f32 v205, 0xbf3f9e67, v117 :: v_dual_add_f32 v26, v128, v26
	v_fmamk_f32 v128, v118, 0xbf3f9e67, v209
	s_delay_alu instid0(VALU_DEP_1) | instskip(SKIP_2) | instid1(VALU_DEP_2)
	v_add_f32_e32 v27, v128, v27
	v_lshrrev_b32_e32 v128, 1, v159
	v_fmac_f32_e32 v204, 0x3f116cb1, v115
	v_mul_u32_u24_e32 v128, 26, v128
	s_delay_alu instid0(VALU_DEP_1) | instskip(NEXT) | instid1(VALU_DEP_1)
	v_or_b32_e32 v128, v128, v28
	v_lshlrev_b32_e32 v196, 3, v128
	v_mul_f32_e32 v128, 0x3f29c268, v210
	ds_store_2addr_b64 v196, v[24:25], v[26:27] offset0:4 offset1:6
	v_fma_f32 v24, 0xbf3f9e67, v105, -v128
	v_fmamk_f32 v25, v106, 0xbf3f9e67, v129
	v_fma_f32 v26, 0x3f62ad3f, v107, -v130
	s_delay_alu instid0(VALU_DEP_3) | instskip(NEXT) | instid1(VALU_DEP_3)
	v_dual_fmamk_f32 v27, v106, 0x3df6dbef, v194 :: v_dual_add_f32 v24, v24, v229
	v_add_f32_e32 v25, v25, v228
	s_delay_alu instid0(VALU_DEP_2) | instskip(SKIP_1) | instid1(VALU_DEP_4)
	v_add_f32_e32 v27, v27, v226
	v_fma_f32 v226, 0x3f116cb1, v107, -v195
	v_add_f32_e32 v24, v26, v24
	v_fmamk_f32 v26, v108, 0x3f62ad3f, v131
	v_fmac_f32_e32 v195, 0x3f116cb1, v107
	s_delay_alu instid0(VALU_DEP_2) | instskip(SKIP_1) | instid1(VALU_DEP_1)
	v_add_f32_e32 v25, v26, v25
	v_fma_f32 v26, 0x3df6dbef, v109, -v132
	v_add_f32_e32 v24, v26, v24
	v_fmamk_f32 v26, v114, 0x3df6dbef, v133
	s_delay_alu instid0(VALU_DEP_1) | instskip(SKIP_1) | instid1(VALU_DEP_1)
	v_add_f32_e32 v25, v26, v25
	v_fma_f32 v26, 0xbf788fa5, v115, -v134
	v_add_f32_e32 v24, v26, v24
	v_fmamk_f32 v26, v116, 0xbf788fa5, v135
	s_delay_alu instid0(VALU_DEP_1) | instskip(SKIP_1) | instid1(VALU_DEP_1)
	v_add_f32_e32 v25, v26, v25
	v_fma_f32 v26, 0x3f116cb1, v117, -v136
	v_add_f32_e32 v24, v26, v24
	v_fmamk_f32 v26, v118, 0x3f116cb1, v137
	s_delay_alu instid0(VALU_DEP_1) | instskip(SKIP_1) | instid1(VALU_DEP_1)
	v_add_f32_e32 v25, v26, v25
	v_fma_f32 v26, 0x3df6dbef, v105, -v138
	v_add_f32_e32 v26, v26, v227
	s_delay_alu instid0(VALU_DEP_1) | instskip(SKIP_1) | instid1(VALU_DEP_1)
	v_add_f32_e32 v26, v226, v26
	v_mul_f32_e32 v226, 0xbf52af12, v215
	v_fmamk_f32 v227, v108, 0x3f116cb1, v226
	s_delay_alu instid0(VALU_DEP_1) | instskip(SKIP_2) | instid1(VALU_DEP_2)
	v_add_f32_e32 v27, v227, v27
	v_mul_f32_e32 v227, 0x3e750f2a, v216
	v_fmac_f32_e32 v134, 0xbf788fa5, v115
	v_fma_f32 v228, 0xbf788fa5, v109, -v227
	s_delay_alu instid0(VALU_DEP_1) | instskip(SKIP_1) | instid1(VALU_DEP_1)
	v_dual_fmac_f32 v227, 0xbf788fa5, v109 :: v_dual_add_f32 v26, v228, v26
	v_mul_f32_e32 v228, 0x3e750f2a, v217
	v_fmamk_f32 v229, v114, 0xbf788fa5, v228
	s_delay_alu instid0(VALU_DEP_1) | instskip(SKIP_1) | instid1(VALU_DEP_1)
	v_add_f32_e32 v27, v229, v27
	v_mul_f32_e32 v229, 0x3eedf032, v218
	v_fma_f32 v230, 0x3f62ad3f, v115, -v229
	s_delay_alu instid0(VALU_DEP_1) | instskip(SKIP_1) | instid1(VALU_DEP_1)
	v_dual_fmac_f32 v229, 0x3f62ad3f, v115 :: v_dual_add_f32 v26, v230, v26
	v_mul_f32_e32 v230, 0x3eedf032, v219
	v_fmamk_f32 v231, v116, 0x3f62ad3f, v230
	s_delay_alu instid0(VALU_DEP_1) | instskip(SKIP_2) | instid1(VALU_DEP_2)
	v_add_f32_e32 v27, v231, v27
	v_mul_f32_e32 v231, 0xbf6f5d39, v220
	v_fmac_f32_e32 v128, 0xbf3f9e67, v105
	v_fma_f32 v232, 0xbeb58ec6, v117, -v231
	s_delay_alu instid0(VALU_DEP_1) | instskip(SKIP_1) | instid1(VALU_DEP_1)
	v_dual_fmac_f32 v231, 0xbeb58ec6, v117 :: v_dual_add_f32 v26, v232, v26
	v_mul_f32_e32 v232, 0xbf6f5d39, v221
	v_fmamk_f32 v233, v118, 0xbeb58ec6, v232
	s_delay_alu instid0(VALU_DEP_1) | instskip(SKIP_3) | instid1(VALU_DEP_1)
	v_add_f32_e32 v27, v233, v27
	v_fmac_f32_e32 v130, 0x3f62ad3f, v107
	ds_store_2addr_b64 v196, v[24:25], v[26:27] offset0:8 offset1:10
	v_dual_mul_f32 v27, 0x3eedf032, v213 :: v_dual_mul_f32 v26, 0x3eedf032, v210
	v_fmamk_f32 v25, v106, 0x3f62ad3f, v27
	s_delay_alu instid0(VALU_DEP_2) | instskip(SKIP_1) | instid1(VALU_DEP_3)
	v_fma_f32 v24, 0x3f62ad3f, v105, -v26
	v_fma_f32 v27, 0x3f62ad3f, v106, -v27
	v_dual_add_f32 v25, v25, v224 :: v_dual_mul_f32 v224, 0xbf29c268, v214
	s_delay_alu instid0(VALU_DEP_2) | instskip(NEXT) | instid1(VALU_DEP_2)
	v_dual_add_f32 v24, v24, v225 :: v_dual_add_f32 v27, v27, v222
	v_fma_f32 v225, 0xbf3f9e67, v107, -v224
	s_delay_alu instid0(VALU_DEP_1) | instskip(NEXT) | instid1(VALU_DEP_1)
	v_dual_add_f32 v24, v225, v24 :: v_dual_mul_f32 v225, 0xbf29c268, v215
	v_fmamk_f32 v233, v108, 0xbf3f9e67, v225
	v_fma_f32 v222, 0xbf3f9e67, v108, -v225
	s_delay_alu instid0(VALU_DEP_2) | instskip(SKIP_1) | instid1(VALU_DEP_3)
	v_add_f32_e32 v25, v233, v25
	v_mul_f32_e32 v233, 0x3f52af12, v216
	v_add_f32_e32 v27, v222, v27
	s_delay_alu instid0(VALU_DEP_2) | instskip(NEXT) | instid1(VALU_DEP_1)
	v_fma_f32 v234, 0x3f116cb1, v109, -v233
	v_add_f32_e32 v24, v234, v24
	v_mul_f32_e32 v234, 0x3f52af12, v217
	v_fmac_f32_e32 v233, 0x3f116cb1, v109
	s_delay_alu instid0(VALU_DEP_2) | instskip(SKIP_1) | instid1(VALU_DEP_2)
	v_fmamk_f32 v235, v114, 0x3f116cb1, v234
	v_fma_f32 v222, 0x3f116cb1, v114, -v234
	v_add_f32_e32 v25, v235, v25
	v_mul_f32_e32 v235, 0xbf6f5d39, v218
	s_delay_alu instid0(VALU_DEP_3) | instskip(NEXT) | instid1(VALU_DEP_2)
	v_dual_add_f32 v27, v222, v27 :: v_dual_fmac_f32 v26, 0x3f62ad3f, v105
	v_fma_f32 v236, 0xbeb58ec6, v115, -v235
	s_delay_alu instid0(VALU_DEP_1) | instskip(SKIP_1) | instid1(VALU_DEP_1)
	v_dual_fmac_f32 v235, 0xbeb58ec6, v115 :: v_dual_add_f32 v24, v236, v24
	v_mul_f32_e32 v236, 0xbf6f5d39, v219
	v_fmamk_f32 v237, v116, 0xbeb58ec6, v236
	v_fma_f32 v222, 0xbeb58ec6, v116, -v236
	s_delay_alu instid0(VALU_DEP_2) | instskip(SKIP_1) | instid1(VALU_DEP_3)
	v_add_f32_e32 v25, v237, v25
	v_mul_f32_e32 v237, 0x3f7e222b, v220
	v_add_f32_e32 v27, v222, v27
	v_add_f32_e32 v26, v26, v223
	v_fmac_f32_e32 v224, 0xbf3f9e67, v107
	v_fmac_f32_e32 v138, 0x3df6dbef, v105
	v_fma_f32 v238, 0x3df6dbef, v117, -v237
	s_delay_alu instid0(VALU_DEP_3) | instskip(NEXT) | instid1(VALU_DEP_2)
	v_dual_fmac_f32 v237, 0x3df6dbef, v117 :: v_dual_add_f32 v26, v224, v26
	v_add_f32_e32 v24, v238, v24
	v_mul_f32_e32 v238, 0x3f7e222b, v221
	s_delay_alu instid0(VALU_DEP_3) | instskip(NEXT) | instid1(VALU_DEP_2)
	v_add_f32_e32 v26, v233, v26
	v_fma_f32 v222, 0x3df6dbef, v118, -v238
	s_delay_alu instid0(VALU_DEP_1) | instskip(NEXT) | instid1(VALU_DEP_1)
	v_dual_add_f32 v26, v235, v26 :: v_dual_add_f32 v27, v222, v27
	v_dual_fmamk_f32 v239, v118, 0x3df6dbef, v238 :: v_dual_add_f32 v26, v237, v26
	s_delay_alu instid0(VALU_DEP_1)
	v_add_f32_e32 v25, v239, v25
	ds_store_2addr_b64 v196, v[24:25], v[26:27] offset0:12 offset1:14
	v_fma_f32 v25, 0xbf3f9e67, v106, -v129
	v_fma_f32 v26, 0x3f62ad3f, v108, -v131
	;; [unrolled: 1-line block ×3, first 2 shown]
	v_dual_add_f32 v24, v128, v212 :: v_dual_mul_f32 v129, 0xbf7e222b, v215
	s_delay_alu instid0(VALU_DEP_4) | instskip(SKIP_1) | instid1(VALU_DEP_4)
	v_add_f32_e32 v25, v25, v211
	v_mul_f32_e32 v131, 0xbf6f5d39, v217
	v_add_f32_e32 v27, v27, v207
	s_delay_alu instid0(VALU_DEP_3) | instskip(SKIP_3) | instid1(VALU_DEP_3)
	v_add_f32_e32 v25, v26, v25
	v_fma_f32 v26, 0x3df6dbef, v114, -v133
	v_fma_f32 v128, 0x3f116cb1, v108, -v226
	v_dual_add_f32 v24, v130, v24 :: v_dual_mul_f32 v133, 0xbf29c268, v219
	v_dual_mul_f32 v130, 0xbf6f5d39, v216 :: v_dual_add_f32 v25, v26, v25
	v_fma_f32 v26, 0xbf788fa5, v116, -v135
	s_delay_alu instid0(VALU_DEP_4)
	v_add_f32_e32 v27, v128, v27
	v_fma_f32 v128, 0xbf788fa5, v114, -v228
	v_fmac_f32_e32 v132, 0x3df6dbef, v109
	v_mul_f32_e32 v135, 0xbe750f2a, v221
	v_add_f32_e32 v25, v26, v25
	v_fma_f32 v26, 0x3f116cb1, v118, -v137
	v_add_f32_e32 v27, v128, v27
	v_add_f32_e32 v24, v132, v24
	v_fma_f32 v128, 0x3f62ad3f, v116, -v230
	s_delay_alu instid0(VALU_DEP_4) | instskip(SKIP_1) | instid1(VALU_DEP_3)
	v_dual_mul_f32 v132, 0xbf29c268, v218 :: v_dual_add_f32 v25, v26, v25
	v_add_f32_e32 v26, v138, v208
	v_dual_add_f32 v24, v134, v24 :: v_dual_add_f32 v27, v128, v27
	v_fma_f32 v128, 0xbeb58ec6, v118, -v232
	v_fmac_f32_e32 v136, 0x3f116cb1, v117
	s_delay_alu instid0(VALU_DEP_2) | instskip(NEXT) | instid1(VALU_DEP_2)
	v_dual_add_f32 v26, v195, v26 :: v_dual_add_f32 v27, v128, v27
	v_add_f32_e32 v24, v136, v24
	s_delay_alu instid0(VALU_DEP_2) | instskip(SKIP_1) | instid1(VALU_DEP_2)
	v_add_f32_e32 v26, v227, v26
	v_mul_f32_e32 v128, 0xbf52af12, v210
	v_add_f32_e32 v26, v229, v26
	s_delay_alu instid0(VALU_DEP_1) | instskip(SKIP_3) | instid1(VALU_DEP_2)
	v_add_f32_e32 v26, v231, v26
	ds_store_2addr_b64 v196, v[26:27], v[24:25] offset0:16 offset1:18
	v_add_f32_e32 v27, v124, v53
	v_fma_f32 v24, 0x3f116cb1, v105, -v128
	v_dual_add_f32 v27, v27, v55 :: v_dual_mul_f32 v134, 0xbe750f2a, v220
	s_delay_alu instid0(VALU_DEP_1) | instskip(NEXT) | instid1(VALU_DEP_1)
	v_dual_add_f32 v24, v24, v126 :: v_dual_add_f32 v27, v27, v57
	v_add_f32_e32 v27, v27, v59
	s_delay_alu instid0(VALU_DEP_1) | instskip(NEXT) | instid1(VALU_DEP_1)
	v_add_f32_e32 v27, v27, v61
	v_dual_mul_f32 v126, 0xbf52af12, v213 :: v_dual_add_f32 v27, v27, v63
	s_delay_alu instid0(VALU_DEP_1) | instskip(NEXT) | instid1(VALU_DEP_2)
	v_fmamk_f32 v25, v106, 0x3f116cb1, v126
	v_add_f32_e32 v27, v27, v65
	s_delay_alu instid0(VALU_DEP_2) | instskip(SKIP_1) | instid1(VALU_DEP_3)
	v_add_f32_e32 v25, v25, v125
	v_mul_f32_e32 v125, 0xbf7e222b, v214
	v_add_f32_e32 v27, v27, v67
	s_delay_alu instid0(VALU_DEP_2) | instskip(SKIP_1) | instid1(VALU_DEP_2)
	v_fma_f32 v26, 0x3df6dbef, v107, -v125
	v_fmac_f32_e32 v125, 0x3df6dbef, v107
	v_dual_add_f32 v27, v27, v69 :: v_dual_add_f32 v24, v26, v24
	s_delay_alu instid0(VALU_DEP_1) | instskip(NEXT) | instid1(VALU_DEP_1)
	v_dual_fmamk_f32 v26, v108, 0x3df6dbef, v129 :: v_dual_add_f32 v27, v27, v71
	v_add_f32_e32 v25, v26, v25
	v_fma_f32 v26, 0xbeb58ec6, v109, -v130
	s_delay_alu instid0(VALU_DEP_1) | instskip(SKIP_1) | instid1(VALU_DEP_1)
	v_dual_add_f32 v27, v27, v73 :: v_dual_add_f32 v24, v26, v24
	v_fmamk_f32 v26, v114, 0xbeb58ec6, v131
	v_add_f32_e32 v25, v26, v25
	v_fma_f32 v26, 0xbf3f9e67, v115, -v132
	s_delay_alu instid0(VALU_DEP_1) | instskip(SKIP_1) | instid1(VALU_DEP_1)
	v_add_f32_e32 v24, v26, v24
	v_fmamk_f32 v26, v116, 0xbf3f9e67, v133
	v_add_f32_e32 v25, v26, v25
	v_fma_f32 v26, 0xbf788fa5, v117, -v134
	v_fmac_f32_e32 v134, 0xbf788fa5, v117
	s_delay_alu instid0(VALU_DEP_2) | instskip(SKIP_1) | instid1(VALU_DEP_1)
	v_add_f32_e32 v24, v26, v24
	v_fmamk_f32 v26, v118, 0xbf788fa5, v135
	v_dual_add_f32 v25, v26, v25 :: v_dual_add_f32 v26, v123, v52
	v_fma_f32 v52, 0xbeb58ec6, v108, -v198
	s_delay_alu instid0(VALU_DEP_2) | instskip(SKIP_1) | instid1(VALU_DEP_2)
	v_add_f32_e32 v26, v26, v54
	v_add_f32_e32 v54, v33, v47
	;; [unrolled: 1-line block ×3, first 2 shown]
	s_delay_alu instid0(VALU_DEP_1) | instskip(NEXT) | instid1(VALU_DEP_1)
	v_add_f32_e32 v26, v26, v58
	v_add_f32_e32 v26, v26, v60
	s_delay_alu instid0(VALU_DEP_1) | instskip(NEXT) | instid1(VALU_DEP_1)
	v_add_f32_e32 v26, v26, v62
	v_add_f32_e32 v26, v26, v64
	;; [unrolled: 3-line block ×4, first 2 shown]
	ds_store_2addr_b64 v196, v[26:27], v[24:25] offset1:2
	v_fma_f32 v25, 0xbeb58ec6, v106, -v182
	v_fma_f32 v27, 0xbf788fa5, v106, -v192
	;; [unrolled: 1-line block ×3, first 2 shown]
	s_delay_alu instid0(VALU_DEP_3) | instskip(NEXT) | instid1(VALU_DEP_3)
	v_add_f32_e32 v25, v25, v121
	v_add_f32_e32 v27, v27, v119
	s_delay_alu instid0(VALU_DEP_2) | instskip(SKIP_1) | instid1(VALU_DEP_3)
	v_dual_add_f32 v24, v127, v122 :: v_dual_add_f32 v25, v26, v25
	v_fma_f32 v26, 0xbf3f9e67, v114, -v186
	v_add_f32_e32 v27, v52, v27
	v_fma_f32 v52, 0x3f62ad3f, v114, -v203
	s_delay_alu instid0(VALU_DEP_4)
	v_add_f32_e32 v24, v183, v24
	v_add_co_u32 v203, null, 0xffffffe6, v159
	v_add_f32_e32 v25, v26, v25
	v_fma_f32 v26, 0x3df6dbef, v116, -v188
	v_add_f32_e32 v27, v52, v27
	v_fma_f32 v52, 0x3f116cb1, v116, -v206
	s_delay_alu instid0(VALU_DEP_3) | instskip(SKIP_1) | instid1(VALU_DEP_3)
	v_dual_add_f32 v24, v185, v24 :: v_dual_add_f32 v25, v26, v25
	v_fma_f32 v26, 0x3f62ad3f, v118, -v191
	v_add_f32_e32 v27, v52, v27
	v_fma_f32 v52, 0xbf3f9e67, v118, -v209
	v_fmac_f32_e32 v190, 0xbf788fa5, v105
	s_delay_alu instid0(VALU_DEP_4) | instskip(NEXT) | instid1(VALU_DEP_2)
	v_dual_add_f32 v24, v187, v24 :: v_dual_add_f32 v25, v26, v25
	v_dual_add_f32 v27, v52, v27 :: v_dual_add_f32 v26, v190, v120
	s_delay_alu instid0(VALU_DEP_2) | instskip(NEXT) | instid1(VALU_DEP_2)
	v_add_f32_e32 v24, v189, v24
	v_add_f32_e32 v26, v197, v26
	s_delay_alu instid0(VALU_DEP_1) | instskip(NEXT) | instid1(VALU_DEP_1)
	v_add_f32_e32 v26, v199, v26
	v_add_f32_e32 v26, v204, v26
	s_delay_alu instid0(VALU_DEP_1) | instskip(SKIP_4) | instid1(VALU_DEP_3)
	v_add_f32_e32 v26, v205, v26
	ds_store_2addr_b64 v196, v[26:27], v[24:25] offset0:20 offset1:22
	v_fma_f32 v24, 0x3f116cb1, v106, -v126
	v_fma_f32 v25, 0x3df6dbef, v108, -v129
	;; [unrolled: 1-line block ×3, first 2 shown]
	v_add_f32_e32 v24, v24, v104
	s_delay_alu instid0(VALU_DEP_1) | instskip(SKIP_1) | instid1(VALU_DEP_2)
	v_add_f32_e32 v24, v25, v24
	v_fma_f32 v25, 0xbf3f9e67, v116, -v133
	v_add_f32_e32 v24, v27, v24
	v_fma_f32 v27, 0xbf788fa5, v118, -v135
	s_delay_alu instid0(VALU_DEP_2) | instskip(NEXT) | instid1(VALU_DEP_1)
	v_add_f32_e32 v25, v25, v24
	v_add_f32_e32 v25, v27, v25
	v_dual_add_f32 v27, v102, v32 :: v_dual_fmac_f32 v128, 0x3f116cb1, v105
	s_delay_alu instid0(VALU_DEP_1) | instskip(NEXT) | instid1(VALU_DEP_1)
	v_add_f32_e32 v27, v27, v30
	v_add_f32_e32 v27, v27, v29
	s_delay_alu instid0(VALU_DEP_1) | instskip(NEXT) | instid1(VALU_DEP_1)
	v_add_f32_e32 v27, v27, v36
	v_dual_add_f32 v27, v27, v35 :: v_dual_fmac_f32 v130, 0xbeb58ec6, v109
	s_delay_alu instid0(VALU_DEP_1) | instskip(NEXT) | instid1(VALU_DEP_1)
	v_add_f32_e32 v27, v27, v39
	v_dual_add_f32 v26, v128, v103 :: v_dual_add_f32 v27, v27, v41
	s_delay_alu instid0(VALU_DEP_1) | instskip(NEXT) | instid1(VALU_DEP_1)
	v_dual_add_f32 v26, v125, v26 :: v_dual_add_f32 v27, v27, v43
	v_dual_add_f32 v27, v27, v45 :: v_dual_fmac_f32 v132, 0xbf3f9e67, v115
	s_delay_alu instid0(VALU_DEP_1) | instskip(NEXT) | instid1(VALU_DEP_1)
	v_dual_add_f32 v27, v27, v48 :: v_dual_add_f32 v26, v130, v26
	v_dual_add_f32 v27, v27, v51 :: v_dual_add_f32 v26, v132, v26
	s_delay_alu instid0(VALU_DEP_1) | instskip(SKIP_1) | instid1(VALU_DEP_1)
	v_add_f32_e32 v24, v134, v26
	v_add_f32_e32 v26, v101, v34
	v_dual_add_f32 v26, v26, v33 :: v_dual_sub_f32 v33, v33, v47
	s_delay_alu instid0(VALU_DEP_1) | instskip(NEXT) | instid1(VALU_DEP_1)
	v_dual_add_f32 v26, v26, v31 :: v_dual_mul_f32 v101, 0x3eedf032, v33
	v_add_f32_e32 v26, v26, v38
	s_delay_alu instid0(VALU_DEP_1) | instskip(NEXT) | instid1(VALU_DEP_1)
	v_add_f32_e32 v26, v26, v37
	v_add_f32_e32 v26, v26, v40
	s_delay_alu instid0(VALU_DEP_1) | instskip(NEXT) | instid1(VALU_DEP_1)
	v_add_f32_e32 v26, v26, v42
	v_add_f32_e32 v26, v26, v44
	s_delay_alu instid0(VALU_DEP_1) | instskip(SKIP_2) | instid1(VALU_DEP_2)
	v_add_f32_e32 v26, v26, v47
	v_sub_f32_e32 v47, v30, v45
	v_add_f32_e32 v45, v30, v45
	v_dual_add_f32 v26, v26, v49 :: v_dual_mul_f32 v55, 0xbf7e222b, v47
	s_delay_alu instid0(VALU_DEP_1) | instskip(SKIP_4) | instid1(VALU_DEP_3)
	v_dual_mul_f32 v71, 0x3f6f5d39, v47 :: v_dual_add_f32 v26, v26, v50
	v_add_f32_e32 v50, v34, v49
	v_dual_sub_f32 v34, v34, v49 :: v_dual_sub_f32 v49, v32, v48
	v_add_f32_e32 v32, v32, v48
	v_fma_f32 v30, 0x3df6dbef, v54, -v55
	v_mul_f32_e32 v52, 0xbf52af12, v34
	s_delay_alu instid0(VALU_DEP_4) | instskip(SKIP_2) | instid1(VALU_DEP_4)
	v_mul_f32_e32 v48, 0xbf52af12, v49
	v_mul_f32_e32 v69, 0xbe750f2a, v49
	;; [unrolled: 1-line block ×3, first 2 shown]
	v_fmamk_f32 v53, v32, 0x3f116cb1, v52
	s_delay_alu instid0(VALU_DEP_4) | instskip(NEXT) | instid1(VALU_DEP_2)
	v_fma_f32 v51, 0x3f116cb1, v50, -v48
	v_add_f32_e32 v53, v53, v99
	s_delay_alu instid0(VALU_DEP_2) | instskip(SKIP_3) | instid1(VALU_DEP_2)
	v_add_f32_e32 v51, v51, v100
	ds_store_b64 v196, v[24:25] offset:192
	v_lshrrev_b32_e32 v24, 1, v77
	v_dual_add_f32 v30, v30, v51 :: v_dual_mul_f32 v51, 0xbf7e222b, v33
	v_mul_u32_u24_e32 v24, 26, v24
	s_delay_alu instid0(VALU_DEP_1) | instskip(NEXT) | instid1(VALU_DEP_1)
	v_or_b32_e32 v24, v24, v28
	v_dual_fmamk_f32 v56, v45, 0x3df6dbef, v51 :: v_dual_lshlrev_b32 v197, 3, v24
	s_delay_alu instid0(VALU_DEP_1) | instskip(SKIP_2) | instid1(VALU_DEP_2)
	v_dual_add_f32 v53, v56, v53 :: v_dual_add_f32 v56, v31, v44
	v_dual_sub_f32 v31, v31, v44 :: v_dual_sub_f32 v44, v29, v43
	v_add_f32_e32 v43, v29, v43
	v_dual_mul_f32 v58, 0xbf6f5d39, v31 :: v_dual_mul_f32 v57, 0xbf6f5d39, v44
	v_mul_f32_e32 v64, 0x3f29c268, v31
	v_mul_f32_e32 v103, 0xbf7e222b, v31
	s_delay_alu instid0(VALU_DEP_3) | instskip(NEXT) | instid1(VALU_DEP_1)
	v_fma_f32 v29, 0xbeb58ec6, v56, -v57
	v_dual_add_f32 v29, v29, v30 :: v_dual_fmamk_f32 v30, v43, 0xbeb58ec6, v58
	s_delay_alu instid0(VALU_DEP_1) | instskip(SKIP_3) | instid1(VALU_DEP_1)
	v_add_f32_e32 v30, v30, v53
	v_add_f32_e32 v53, v38, v42
	v_sub_f32_e32 v38, v38, v42
	v_sub_f32_e32 v42, v36, v41
	v_dual_add_f32 v36, v36, v41 :: v_dual_mul_f32 v41, 0xbf29c268, v42
	s_delay_alu instid0(VALU_DEP_1) | instskip(SKIP_1) | instid1(VALU_DEP_2)
	v_fma_f32 v59, 0xbf3f9e67, v53, -v41
	v_fmac_f32_e32 v41, 0xbf3f9e67, v53
	v_add_f32_e32 v29, v59, v29
	v_mul_f32_e32 v59, 0xbf29c268, v38
	v_fmac_f32_e32 v48, 0x3f116cb1, v50
	s_delay_alu instid0(VALU_DEP_2) | instskip(NEXT) | instid1(VALU_DEP_1)
	v_fmamk_f32 v60, v36, 0xbf3f9e67, v59
	v_add_f32_e32 v30, v60, v30
	v_add_f32_e32 v60, v37, v40
	v_dual_sub_f32 v37, v37, v40 :: v_dual_sub_f32 v40, v35, v39
	v_dual_add_f32 v35, v35, v39 :: v_dual_mul_f32 v70, 0xbe750f2a, v34
	s_delay_alu instid0(VALU_DEP_2) | instskip(NEXT) | instid1(VALU_DEP_3)
	v_mul_f32_e32 v107, 0x3f52af12, v37
	v_mul_f32_e32 v39, 0xbe750f2a, v40
	;; [unrolled: 1-line block ×4, first 2 shown]
	v_fma_f32 v72, 0xbeb58ec6, v54, -v71
	v_mul_f32_e32 v105, 0x3e750f2a, v38
	v_fma_f32 v61, 0xbf788fa5, v60, -v39
	v_fmac_f32_e32 v71, 0xbeb58ec6, v54
	v_fmac_f32_e32 v55, 0x3df6dbef, v54
	s_delay_alu instid0(VALU_DEP_3) | instskip(SKIP_2) | instid1(VALU_DEP_2)
	v_add_f32_e32 v29, v61, v29
	v_mul_f32_e32 v61, 0xbe750f2a, v37
	v_fmac_f32_e32 v57, 0xbeb58ec6, v56
	v_fmamk_f32 v62, v35, 0xbf788fa5, v61
	s_delay_alu instid0(VALU_DEP_1)
	v_add_f32_e32 v30, v62, v30
	v_mul_f32_e32 v62, 0xbe750f2a, v33
	ds_store_2addr_b64 v197, v[26:27], v[29:30] offset1:2
	v_fmamk_f32 v27, v32, 0xbf788fa5, v70
	v_mul_f32_e32 v29, 0xbf6f5d39, v34
	v_mul_f32_e32 v30, 0xbe750f2a, v47
	;; [unrolled: 1-line block ×3, first 2 shown]
	s_delay_alu instid0(VALU_DEP_4)
	v_dual_mul_f32 v68, 0x3eedf032, v37 :: v_dual_add_f32 v27, v27, v95
	v_mul_f32_e32 v28, 0xbf6f5d39, v49
	v_fmamk_f32 v25, v32, 0xbeb58ec6, v29
	v_fma_f32 v26, 0xbf788fa5, v54, -v30
	v_mul_f32_e32 v65, 0x3f7e222b, v42
	v_mul_f32_e32 v102, 0xbf7e222b, v44
	v_fma_f32 v24, 0xbeb58ec6, v50, -v28
	v_dual_add_f32 v25, v25, v97 :: v_dual_mul_f32 v104, 0x3e750f2a, v42
	s_delay_alu instid0(VALU_DEP_2) | instskip(NEXT) | instid1(VALU_DEP_1)
	v_add_f32_e32 v24, v24, v98
	v_add_f32_e32 v24, v26, v24
	v_fmamk_f32 v26, v45, 0xbf788fa5, v62
	s_delay_alu instid0(VALU_DEP_1) | instskip(SKIP_2) | instid1(VALU_DEP_2)
	v_add_f32_e32 v25, v26, v25
	v_fma_f32 v26, 0xbf3f9e67, v56, -v63
	v_fmac_f32_e32 v63, 0xbf3f9e67, v56
	v_add_f32_e32 v24, v26, v24
	v_fmamk_f32 v26, v43, 0xbf3f9e67, v64
	s_delay_alu instid0(VALU_DEP_1) | instskip(SKIP_1) | instid1(VALU_DEP_1)
	v_add_f32_e32 v25, v26, v25
	v_fma_f32 v26, 0x3df6dbef, v53, -v65
	v_dual_fmac_f32 v65, 0x3df6dbef, v53 :: v_dual_add_f32 v24, v26, v24
	v_fmamk_f32 v26, v36, 0x3df6dbef, v66
	s_delay_alu instid0(VALU_DEP_1) | instskip(SKIP_3) | instid1(VALU_DEP_3)
	v_add_f32_e32 v25, v26, v25
	v_fma_f32 v26, 0x3f62ad3f, v60, -v67
	v_fmac_f32_e32 v67, 0x3f62ad3f, v60
	v_fmac_f32_e32 v39, 0xbf788fa5, v60
	v_add_f32_e32 v24, v26, v24
	v_fmamk_f32 v26, v35, 0x3f62ad3f, v68
	s_delay_alu instid0(VALU_DEP_1) | instskip(SKIP_2) | instid1(VALU_DEP_2)
	v_add_f32_e32 v25, v26, v25
	v_fma_f32 v26, 0xbf788fa5, v50, -v69
	v_mul_f32_e32 v106, 0x3f52af12, v40
	v_dual_fmac_f32 v69, 0xbf788fa5, v50 :: v_dual_add_f32 v26, v26, v96
	s_delay_alu instid0(VALU_DEP_1) | instskip(SKIP_1) | instid1(VALU_DEP_1)
	v_add_f32_e32 v26, v72, v26
	v_mul_f32_e32 v72, 0x3f6f5d39, v33
	v_fmamk_f32 v73, v45, 0xbeb58ec6, v72
	s_delay_alu instid0(VALU_DEP_1) | instskip(SKIP_2) | instid1(VALU_DEP_2)
	v_add_f32_e32 v27, v73, v27
	v_mul_f32_e32 v73, 0x3eedf032, v44
	v_fmac_f32_e32 v28, 0xbeb58ec6, v50
	v_fma_f32 v95, 0x3f62ad3f, v56, -v73
	s_delay_alu instid0(VALU_DEP_1) | instskip(SKIP_1) | instid1(VALU_DEP_1)
	v_dual_fmac_f32 v73, 0x3f62ad3f, v56 :: v_dual_add_f32 v26, v95, v26
	v_mul_f32_e32 v95, 0x3eedf032, v31
	v_fmamk_f32 v96, v43, 0x3f62ad3f, v95
	s_delay_alu instid0(VALU_DEP_1) | instskip(NEXT) | instid1(VALU_DEP_1)
	v_dual_add_f32 v27, v96, v27 :: v_dual_mul_f32 v96, 0xbf52af12, v42
	v_fma_f32 v97, 0x3f116cb1, v53, -v96
	s_delay_alu instid0(VALU_DEP_1) | instskip(SKIP_1) | instid1(VALU_DEP_1)
	v_add_f32_e32 v26, v97, v26
	v_mul_f32_e32 v97, 0xbf52af12, v38
	v_fmamk_f32 v98, v36, 0x3f116cb1, v97
	s_delay_alu instid0(VALU_DEP_1) | instskip(NEXT) | instid1(VALU_DEP_1)
	v_dual_add_f32 v27, v98, v27 :: v_dual_mul_f32 v98, 0xbf29c268, v40
	v_fma_f32 v99, 0xbf3f9e67, v60, -v98
	s_delay_alu instid0(VALU_DEP_1) | instskip(NEXT) | instid1(VALU_DEP_1)
	v_dual_add_f32 v26, v99, v26 :: v_dual_mul_f32 v99, 0xbf29c268, v37
	v_fmamk_f32 v100, v35, 0xbf3f9e67, v99
	s_delay_alu instid0(VALU_DEP_1) | instskip(SKIP_2) | instid1(VALU_DEP_1)
	v_dual_add_f32 v27, v100, v27 :: v_dual_mul_f32 v100, 0x3f29c268, v49
	ds_store_2addr_b64 v197, v[24:25], v[26:27] offset0:4 offset1:6
	v_fma_f32 v24, 0xbf3f9e67, v50, -v100
	v_add_f32_e32 v24, v24, v94
	v_mul_f32_e32 v94, 0x3f29c268, v34
	s_delay_alu instid0(VALU_DEP_1) | instskip(NEXT) | instid1(VALU_DEP_1)
	v_fmamk_f32 v25, v32, 0xbf3f9e67, v94
	v_add_f32_e32 v25, v25, v93
	v_mul_f32_e32 v93, 0x3eedf032, v47
	v_fmac_f32_e32 v30, 0xbf788fa5, v54
	s_delay_alu instid0(VALU_DEP_2) | instskip(NEXT) | instid1(VALU_DEP_1)
	v_fma_f32 v26, 0x3f62ad3f, v54, -v93
	v_dual_fmac_f32 v93, 0x3f62ad3f, v54 :: v_dual_add_f32 v24, v26, v24
	v_fmamk_f32 v26, v45, 0x3f62ad3f, v101
	s_delay_alu instid0(VALU_DEP_1) | instskip(SKIP_1) | instid1(VALU_DEP_1)
	v_add_f32_e32 v25, v26, v25
	v_fma_f32 v26, 0x3df6dbef, v56, -v102
	v_add_f32_e32 v24, v26, v24
	v_fmamk_f32 v26, v43, 0x3df6dbef, v103
	s_delay_alu instid0(VALU_DEP_1) | instskip(SKIP_1) | instid1(VALU_DEP_1)
	v_add_f32_e32 v25, v26, v25
	v_fma_f32 v26, 0xbf788fa5, v53, -v104
	v_add_f32_e32 v24, v26, v24
	v_fmamk_f32 v26, v36, 0xbf788fa5, v105
	s_delay_alu instid0(VALU_DEP_1) | instskip(SKIP_1) | instid1(VALU_DEP_1)
	v_add_f32_e32 v25, v26, v25
	v_fma_f32 v26, 0x3f116cb1, v60, -v106
	v_add_f32_e32 v24, v26, v24
	v_fmamk_f32 v26, v35, 0x3f116cb1, v107
	s_delay_alu instid0(VALU_DEP_1) | instskip(SKIP_1) | instid1(VALU_DEP_1)
	v_add_f32_e32 v25, v26, v25
	v_fma_f32 v26, 0x3df6dbef, v50, -v108
	v_add_f32_e32 v26, v26, v92
	v_mul_f32_e32 v92, 0x3f7e222b, v34
	s_delay_alu instid0(VALU_DEP_1) | instskip(NEXT) | instid1(VALU_DEP_1)
	v_fmamk_f32 v27, v32, 0x3df6dbef, v92
	v_add_f32_e32 v27, v27, v91
	v_mul_f32_e32 v91, 0xbf52af12, v47
	v_fmac_f32_e32 v96, 0x3f116cb1, v53
	s_delay_alu instid0(VALU_DEP_2) | instskip(SKIP_1) | instid1(VALU_DEP_2)
	v_fma_f32 v109, 0x3f116cb1, v54, -v91
	v_fmac_f32_e32 v91, 0x3f116cb1, v54
	v_dual_add_f32 v26, v109, v26 :: v_dual_mul_f32 v109, 0xbf52af12, v33
	v_mul_f32_e32 v33, 0xbf29c268, v33
	s_delay_alu instid0(VALU_DEP_2) | instskip(NEXT) | instid1(VALU_DEP_1)
	v_fmamk_f32 v114, v45, 0x3f116cb1, v109
	v_dual_add_f32 v27, v114, v27 :: v_dual_mul_f32 v114, 0x3e750f2a, v44
	v_mul_f32_e32 v44, 0x3f52af12, v44
	s_delay_alu instid0(VALU_DEP_2) | instskip(NEXT) | instid1(VALU_DEP_1)
	v_fma_f32 v115, 0xbf788fa5, v56, -v114
	v_dual_add_f32 v26, v115, v26 :: v_dual_mul_f32 v115, 0x3e750f2a, v31
	v_mul_f32_e32 v31, 0x3f52af12, v31
	v_fmac_f32_e32 v104, 0xbf788fa5, v53
	v_fmac_f32_e32 v106, 0x3f116cb1, v60
	s_delay_alu instid0(VALU_DEP_4) | instskip(NEXT) | instid1(VALU_DEP_1)
	v_fmamk_f32 v116, v43, 0xbf788fa5, v115
	v_dual_add_f32 v27, v116, v27 :: v_dual_mul_f32 v116, 0x3eedf032, v42
	v_mul_f32_e32 v42, 0xbf6f5d39, v42
	s_delay_alu instid0(VALU_DEP_2) | instskip(NEXT) | instid1(VALU_DEP_1)
	v_fma_f32 v117, 0x3f62ad3f, v53, -v116
	v_add_f32_e32 v26, v117, v26
	v_mul_f32_e32 v117, 0x3eedf032, v38
	v_mul_f32_e32 v38, 0xbf6f5d39, v38
	s_delay_alu instid0(VALU_DEP_2) | instskip(NEXT) | instid1(VALU_DEP_1)
	v_fmamk_f32 v118, v36, 0x3f62ad3f, v117
	v_dual_add_f32 v27, v118, v27 :: v_dual_mul_f32 v118, 0xbf6f5d39, v40
	v_mul_f32_e32 v40, 0x3f7e222b, v40
	s_delay_alu instid0(VALU_DEP_2) | instskip(NEXT) | instid1(VALU_DEP_1)
	v_fma_f32 v119, 0xbeb58ec6, v60, -v118
	v_dual_add_f32 v26, v119, v26 :: v_dual_mul_f32 v119, 0xbf6f5d39, v37
	v_mul_f32_e32 v37, 0x3f7e222b, v37
	s_delay_alu instid0(VALU_DEP_2) | instskip(NEXT) | instid1(VALU_DEP_1)
	v_fmamk_f32 v120, v35, 0xbeb58ec6, v119
	v_dual_add_f32 v27, v120, v27 :: v_dual_fmac_f32 v98, 0xbf3f9e67, v60
	ds_store_2addr_b64 v197, v[24:25], v[26:27] offset0:8 offset1:10
	v_dual_mul_f32 v26, 0x3eedf032, v49 :: v_dual_mul_f32 v27, 0x3eedf032, v34
	v_mul_f32_e32 v34, 0xbf29c268, v47
	s_delay_alu instid0(VALU_DEP_2) | instskip(NEXT) | instid1(VALU_DEP_3)
	v_fma_f32 v24, 0x3f62ad3f, v50, -v26
	v_fmamk_f32 v25, v32, 0x3f62ad3f, v27
	s_delay_alu instid0(VALU_DEP_3) | instskip(SKIP_2) | instid1(VALU_DEP_4)
	v_fma_f32 v47, 0xbf3f9e67, v54, -v34
	v_fmac_f32_e32 v26, 0x3f62ad3f, v50
	v_fma_f32 v27, 0x3f62ad3f, v32, -v27
	v_dual_add_f32 v24, v24, v90 :: v_dual_add_f32 v25, v25, v89
	v_fmac_f32_e32 v34, 0xbf3f9e67, v54
	s_delay_alu instid0(VALU_DEP_3) | instskip(NEXT) | instid1(VALU_DEP_3)
	v_dual_add_f32 v26, v26, v88 :: v_dual_add_f32 v27, v27, v87
	v_dual_add_f32 v24, v47, v24 :: v_dual_fmamk_f32 v47, v45, 0xbf3f9e67, v33
	v_fma_f32 v33, 0xbf3f9e67, v45, -v33
	s_delay_alu instid0(VALU_DEP_3) | instskip(NEXT) | instid1(VALU_DEP_3)
	v_add_f32_e32 v26, v34, v26
	v_dual_fmac_f32 v100, 0xbf3f9e67, v50 :: v_dual_add_f32 v25, v47, v25
	v_fma_f32 v47, 0x3f116cb1, v56, -v44
	s_delay_alu instid0(VALU_DEP_4) | instskip(NEXT) | instid1(VALU_DEP_2)
	v_dual_add_f32 v27, v33, v27 :: v_dual_fmac_f32 v44, 0x3f116cb1, v56
	v_add_f32_e32 v24, v47, v24
	v_fmamk_f32 v47, v43, 0x3f116cb1, v31
	v_fma_f32 v31, 0x3f116cb1, v43, -v31
	s_delay_alu instid0(VALU_DEP_2) | instskip(SKIP_1) | instid1(VALU_DEP_3)
	v_dual_add_f32 v26, v44, v26 :: v_dual_add_f32 v25, v47, v25
	v_fma_f32 v47, 0xbeb58ec6, v53, -v42
	v_dual_add_f32 v27, v31, v27 :: v_dual_fmac_f32 v42, 0xbeb58ec6, v53
	v_fma_f32 v31, 0xbeb58ec6, v36, -v38
	v_fmac_f32_e32 v108, 0x3df6dbef, v50
	s_delay_alu instid0(VALU_DEP_4) | instskip(NEXT) | instid1(VALU_DEP_3)
	v_dual_add_f32 v24, v47, v24 :: v_dual_fmamk_f32 v47, v36, 0xbeb58ec6, v38
	v_dual_add_f32 v26, v42, v26 :: v_dual_add_f32 v27, v31, v27
	v_fma_f32 v31, 0x3df6dbef, v35, -v37
	s_delay_alu instid0(VALU_DEP_3) | instskip(SKIP_1) | instid1(VALU_DEP_3)
	v_add_f32_e32 v25, v47, v25
	v_fma_f32 v47, 0x3df6dbef, v60, -v40
	v_dual_fmac_f32 v40, 0x3df6dbef, v60 :: v_dual_add_f32 v27, v31, v27
	v_fma_f32 v31, 0x3f116cb1, v45, -v109
	v_fmac_f32_e32 v102, 0x3df6dbef, v56
	s_delay_alu instid0(VALU_DEP_4) | instskip(NEXT) | instid1(VALU_DEP_4)
	v_add_f32_e32 v24, v47, v24
	v_dual_fmamk_f32 v47, v35, 0x3df6dbef, v37 :: v_dual_add_f32 v26, v40, v26
	s_delay_alu instid0(VALU_DEP_1) | instskip(SKIP_4) | instid1(VALU_DEP_3)
	v_dual_fmac_f32 v114, 0xbf788fa5, v56 :: v_dual_add_f32 v25, v47, v25
	ds_store_2addr_b64 v197, v[24:25], v[26:27] offset0:12 offset1:14
	v_fma_f32 v25, 0xbf3f9e67, v32, -v94
	v_fma_f32 v26, 0x3f62ad3f, v45, -v101
	v_fma_f32 v27, 0x3df6dbef, v32, -v92
	v_dual_add_f32 v24, v100, v86 :: v_dual_add_f32 v25, v25, v85
	s_delay_alu instid0(VALU_DEP_1) | instskip(NEXT) | instid1(VALU_DEP_2)
	v_dual_add_f32 v27, v27, v83 :: v_dual_add_f32 v24, v93, v24
	v_add_f32_e32 v25, v26, v25
	v_fma_f32 v26, 0x3df6dbef, v43, -v103
	s_delay_alu instid0(VALU_DEP_3) | instskip(SKIP_2) | instid1(VALU_DEP_4)
	v_add_f32_e32 v27, v31, v27
	v_fma_f32 v31, 0xbf788fa5, v43, -v115
	v_add_f32_e32 v24, v102, v24
	v_add_f32_e32 v25, v26, v25
	v_fma_f32 v26, 0xbf788fa5, v36, -v105
	s_delay_alu instid0(VALU_DEP_4) | instskip(SKIP_1) | instid1(VALU_DEP_3)
	v_dual_add_f32 v27, v31, v27 :: v_dual_fmac_f32 v116, 0x3f62ad3f, v53
	v_fma_f32 v31, 0x3f62ad3f, v36, -v117
	v_dual_add_f32 v24, v104, v24 :: v_dual_add_f32 v25, v26, v25
	v_fma_f32 v26, 0x3f116cb1, v35, -v107
	s_delay_alu instid0(VALU_DEP_3) | instskip(SKIP_1) | instid1(VALU_DEP_4)
	v_add_f32_e32 v27, v31, v27
	v_fma_f32 v31, 0xbeb58ec6, v35, -v119
	v_add_f32_e32 v24, v106, v24
	s_delay_alu instid0(VALU_DEP_4) | instskip(NEXT) | instid1(VALU_DEP_3)
	v_dual_add_f32 v25, v26, v25 :: v_dual_add_f32 v26, v108, v84
	v_dual_fmac_f32 v118, 0xbeb58ec6, v60 :: v_dual_add_f32 v27, v31, v27
	s_delay_alu instid0(VALU_DEP_2) | instskip(NEXT) | instid1(VALU_DEP_1)
	v_add_f32_e32 v26, v91, v26
	v_add_f32_e32 v26, v114, v26
	s_delay_alu instid0(VALU_DEP_1) | instskip(NEXT) | instid1(VALU_DEP_1)
	v_add_f32_e32 v26, v116, v26
	v_add_f32_e32 v26, v118, v26
	ds_store_2addr_b64 v197, v[26:27], v[24:25] offset0:16 offset1:18
	v_fma_f32 v25, 0xbeb58ec6, v32, -v29
	v_fma_f32 v26, 0xbf788fa5, v45, -v62
	v_fma_f32 v27, 0xbf788fa5, v32, -v70
	v_add_f32_e32 v24, v28, v82
	v_fma_f32 v28, 0xbeb58ec6, v45, -v72
	v_add_f32_e32 v25, v25, v81
	s_delay_alu instid0(VALU_DEP_3) | instskip(SKIP_2) | instid1(VALU_DEP_3)
	v_dual_add_f32 v27, v27, v79 :: v_dual_add_f32 v24, v30, v24
	s_wait_alu 0xfffd
	v_cndmask_b32_e32 v79, v203, v159, vcc_lo
	v_add_f32_e32 v25, v26, v25
	v_fma_f32 v26, 0xbf3f9e67, v43, -v64
	v_add_f32_e32 v27, v28, v27
	v_fma_f32 v28, 0x3f62ad3f, v43, -v95
	s_delay_alu instid0(VALU_DEP_3) | instskip(SKIP_1) | instid1(VALU_DEP_3)
	v_dual_add_f32 v24, v63, v24 :: v_dual_add_f32 v25, v26, v25
	v_fma_f32 v26, 0x3df6dbef, v36, -v66
	v_add_f32_e32 v27, v28, v27
	v_fma_f32 v28, 0x3f116cb1, v36, -v97
	s_delay_alu instid0(VALU_DEP_3) | instskip(SKIP_1) | instid1(VALU_DEP_3)
	v_dual_add_f32 v24, v65, v24 :: v_dual_add_f32 v25, v26, v25
	v_fma_f32 v26, 0x3f62ad3f, v35, -v68
	v_add_f32_e32 v27, v28, v27
	v_fma_f32 v28, 0xbf3f9e67, v35, -v99
	s_delay_alu instid0(VALU_DEP_3) | instskip(NEXT) | instid1(VALU_DEP_2)
	v_dual_add_f32 v24, v67, v24 :: v_dual_add_f32 v25, v26, v25
	v_dual_add_f32 v26, v69, v80 :: v_dual_add_f32 v27, v28, v27
	s_delay_alu instid0(VALU_DEP_1) | instskip(NEXT) | instid1(VALU_DEP_1)
	v_add_f32_e32 v26, v71, v26
	v_add_f32_e32 v26, v73, v26
	s_delay_alu instid0(VALU_DEP_1) | instskip(NEXT) | instid1(VALU_DEP_1)
	v_add_f32_e32 v26, v96, v26
	v_add_f32_e32 v26, v98, v26
	ds_store_2addr_b64 v197, v[26:27], v[24:25] offset0:20 offset1:22
	v_fma_f32 v24, 0x3f116cb1, v32, -v52
	v_add_f32_e32 v25, v48, v74
	v_fma_f32 v26, 0x3df6dbef, v45, -v51
	v_fma_f32 v27, 0xbf788fa5, v35, -v61
	s_delay_alu instid0(VALU_DEP_4) | instskip(NEXT) | instid1(VALU_DEP_1)
	v_add_f32_e32 v24, v24, v75
	v_dual_add_f32 v24, v26, v24 :: v_dual_add_f32 v25, v55, v25
	v_fma_f32 v26, 0xbeb58ec6, v43, -v58
	s_delay_alu instid0(VALU_DEP_1) | instskip(SKIP_1) | instid1(VALU_DEP_1)
	v_dual_add_f32 v25, v57, v25 :: v_dual_add_f32 v24, v26, v24
	v_fma_f32 v26, 0xbf3f9e67, v36, -v59
	v_dual_add_f32 v25, v41, v25 :: v_dual_add_f32 v26, v26, v24
	s_delay_alu instid0(VALU_DEP_1) | instskip(NEXT) | instid1(VALU_DEP_2)
	v_add_f32_e32 v24, v39, v25
	v_add_f32_e32 v25, v27, v26
	ds_store_b64 v197, v[24:25] offset:192
	v_mul_i32_i24_e32 v24, 0x60, v79
	v_mul_hi_i32_i24_e32 v25, 0x60, v79
	global_wb scope:SCOPE_SE
	s_wait_dscnt 0x0
	s_barrier_signal -1
	s_barrier_wait -1
	v_add_co_u32 v40, s2, s10, v24
	s_wait_alu 0xf1ff
	v_add_co_ci_u32_e64 v41, s2, s11, v25, s2
	global_inv scope:SCOPE_SE
	ds_load_2addr_b64 v[42:45], v193 offset0:104 offset1:156
	ds_load_2addr_b64 v[54:57], v111 offset0:80 offset1:132
	s_clause 0x1
	global_load_b128 v[24:27], v[40:41], off offset:192
	global_load_b128 v[36:39], v[40:41], off offset:208
	v_cmp_lt_u16_e64 s2, 25, v76
	s_wait_alu 0xf1ff
	s_delay_alu instid0(VALU_DEP_1) | instskip(NEXT) | instid1(VALU_DEP_1)
	v_cndmask_b32_e64 v76, 0, 0x152, s2
	v_add_lshl_u32 v198, v79, v76, 3
	s_wait_loadcnt_dscnt 0x101
	v_mul_f32_e32 v28, v43, v25
	s_wait_dscnt 0x0
	v_mul_f32_e32 v182, v54, v27
	v_mul_f32_e32 v188, v42, v25
	s_delay_alu instid0(VALU_DEP_3) | instskip(SKIP_1) | instid1(VALU_DEP_4)
	v_fma_f32 v187, v42, v24, -v28
	v_mul_f32_e32 v28, v55, v27
	v_fmac_f32_e32 v182, v55, v26
	s_delay_alu instid0(VALU_DEP_4) | instskip(NEXT) | instid1(VALU_DEP_3)
	v_fmac_f32_e32 v188, v43, v24
	v_fma_f32 v127, v54, v26, -v28
	s_clause 0x1
	global_load_b128 v[28:31], v[40:41], off offset:272
	global_load_b128 v[32:35], v[40:41], off offset:256
	ds_load_2addr_b64 v[48:51], v181 offset0:120 offset1:172
	ds_load_2addr_b64 v[52:55], v46 offset0:96 offset1:148
	;; [unrolled: 1-line block ×4, first 2 shown]
	s_wait_loadcnt_dscnt 0x201
	v_mul_f32_e32 v190, v60, v37
	s_wait_dscnt 0x0
	s_delay_alu instid0(VALU_DEP_1) | instskip(NEXT) | instid1(VALU_DEP_1)
	v_dual_mul_f32 v215, v68, v39 :: v_dual_fmac_f32 v190, v61, v36
	v_fmac_f32_e32 v215, v69, v38
	s_wait_loadcnt 0x1
	v_dual_mul_f32 v42, v49, v29 :: v_dual_mul_f32 v125, v52, v31
	s_delay_alu instid0(VALU_DEP_1) | instskip(NEXT) | instid1(VALU_DEP_1)
	v_fma_f32 v123, v48, v28, -v42
	v_dual_fmac_f32 v125, v53, v30 :: v_dual_sub_f32 v118, v127, v123
	s_delay_alu instid0(VALU_DEP_1) | instskip(NEXT) | instid1(VALU_DEP_2)
	v_dual_add_f32 v114, v127, v123 :: v_dual_sub_f32 v209, v188, v125
	v_dual_add_f32 v206, v188, v125 :: v_dual_mul_f32 v233, 0xbe750f2a, v118
	v_mul_f32_e32 v124, v48, v29
	v_mul_f32_e32 v122, 0xbf6f5d39, v118
	s_delay_alu instid0(VALU_DEP_2) | instskip(SKIP_3) | instid1(VALU_DEP_2)
	v_fmac_f32_e32 v124, v49, v28
	ds_load_2addr_b64 v[46:49], v193 offset1:52
	v_dual_sub_f32 v117, v182, v124 :: v_dual_add_nc_u32 v130, 0x800, v198
	v_dual_mul_f32 v42, v53, v31 :: v_dual_add_f32 v115, v182, v124
	v_mul_f32_e32 v43, 0xbf6f5d39, v117
	s_delay_alu instid0(VALU_DEP_2) | instskip(SKIP_1) | instid1(VALU_DEP_4)
	v_fma_f32 v126, v52, v30, -v42
	v_mul_f32_e32 v42, 0xbf52af12, v209
	v_fma_f32 v52, 0xbeb58ec6, v115, -v122
	s_delay_alu instid0(VALU_DEP_4) | instskip(NEXT) | instid1(VALU_DEP_4)
	v_fma_f32 v121, 0xbeb58ec6, v114, -v43
	v_add_f32_e32 v207, v187, v126
	v_sub_f32_e32 v208, v187, v126
	v_fmac_f32_e32 v43, 0xbeb58ec6, v114
	s_delay_alu instid0(VALU_DEP_3) | instskip(SKIP_1) | instid1(VALU_DEP_4)
	v_fma_f32 v192, 0x3f116cb1, v207, -v42
	v_fmac_f32_e32 v42, 0x3f116cb1, v207
	v_mul_f32_e32 v210, 0xbf52af12, v208
	v_mul_f32_e32 v243, 0xbf7e222b, v208
	s_wait_dscnt 0x0
	v_add_f32_e32 v187, v46, v187
	v_add_f32_e32 v42, v46, v42
	s_delay_alu instid0(VALU_DEP_1) | instskip(SKIP_1) | instid1(VALU_DEP_1)
	v_add_f32_e32 v42, v43, v42
	v_fma_f32 v43, 0x3f116cb1, v206, -v210
	v_add_f32_e32 v43, v47, v43
	s_delay_alu instid0(VALU_DEP_1) | instskip(NEXT) | instid1(VALU_DEP_1)
	v_dual_add_f32 v43, v52, v43 :: v_dual_mul_f32 v52, v61, v37
	v_fma_f32 v189, v60, v36, -v52
	ds_load_2addr_b64 v[58:61], v181 offset0:16 offset1:68
	s_wait_loadcnt_dscnt 0x0
	v_mul_f32_e32 v185, v58, v35
	v_mul_f32_e32 v52, v59, v35
	s_delay_alu instid0(VALU_DEP_2) | instskip(NEXT) | instid1(VALU_DEP_2)
	v_fmac_f32_e32 v185, v59, v34
	v_fma_f32 v186, v58, v34, -v52
	v_mul_f32_e32 v59, 0xbe750f2a, v117
	s_delay_alu instid0(VALU_DEP_3) | instskip(NEXT) | instid1(VALU_DEP_3)
	v_sub_f32_e32 v120, v190, v185
	v_add_f32_e32 v116, v189, v186
	v_dual_sub_f32 v184, v189, v186 :: v_dual_add_f32 v119, v190, v185
	s_delay_alu instid0(VALU_DEP_4) | instskip(NEXT) | instid1(VALU_DEP_4)
	v_fma_f32 v232, 0xbf788fa5, v114, -v59
	v_mul_f32_e32 v52, 0xbe750f2a, v120
	v_fmac_f32_e32 v59, 0xbf788fa5, v114
	s_delay_alu instid0(VALU_DEP_4) | instskip(SKIP_4) | instid1(VALU_DEP_1)
	v_mul_f32_e32 v205, 0xbe750f2a, v184
	v_mul_f32_e32 v235, 0x3f6f5d39, v184
	;; [unrolled: 1-line block ×3, first 2 shown]
	v_fma_f32 v204, 0xbf788fa5, v116, -v52
	v_fmac_f32_e32 v52, 0xbf788fa5, v116
	v_add_f32_e32 v42, v52, v42
	v_fma_f32 v52, 0xbf788fa5, v119, -v205
	s_delay_alu instid0(VALU_DEP_1) | instskip(SKIP_1) | instid1(VALU_DEP_1)
	v_add_f32_e32 v43, v52, v43
	v_mul_f32_e32 v52, v69, v39
	v_fma_f32 v214, v68, v38, -v52
	ds_load_2addr_b64 v[66:69], v110 offset0:168 offset1:220
	s_wait_dscnt 0x0
	v_mul_f32_e32 v212, v66, v33
	v_mul_f32_e32 v52, v67, v33
	s_delay_alu instid0(VALU_DEP_2) | instskip(NEXT) | instid1(VALU_DEP_2)
	v_fmac_f32_e32 v212, v67, v32
	v_fma_f32 v213, v66, v32, -v52
	v_mul_f32_e32 v194, 0xbf29c268, v208
	s_delay_alu instid0(VALU_DEP_3) | instskip(NEXT) | instid1(VALU_DEP_3)
	v_sub_f32_e32 v199, v215, v212
	v_add_f32_e32 v183, v214, v213
	v_sub_f32_e32 v211, v214, v213
	s_delay_alu instid0(VALU_DEP_3) | instskip(NEXT) | instid1(VALU_DEP_2)
	v_dual_add_f32 v191, v215, v212 :: v_dual_mul_f32 v52, 0x3f29c268, v199
	v_mul_f32_e32 v218, 0x3f29c268, v211
	v_mul_f32_e32 v237, 0x3eedf032, v211
	s_delay_alu instid0(VALU_DEP_3) | instskip(SKIP_1) | instid1(VALU_DEP_1)
	v_fma_f32 v216, 0xbf3f9e67, v183, -v52
	v_fmac_f32_e32 v52, 0xbf3f9e67, v183
	v_add_f32_e32 v52, v52, v42
	v_fma_f32 v42, 0xbf3f9e67, v191, -v218
	s_delay_alu instid0(VALU_DEP_1)
	v_add_f32_e32 v53, v42, v43
	s_clause 0x1
	global_load_b128 v[64:67], v[40:41], off offset:224
	global_load_b128 v[40:43], v[40:41], off offset:240
	ds_load_2addr_b64 v[98:101], v113 offset0:8 offset1:60
	ds_load_2addr_b64 v[72:75], v110 offset0:64 offset1:116
	ds_load_2addr_b64 v[102:105], v113 offset0:112 offset1:164
	ds_load_2addr_b64 v[106:109], v78 offset0:88 offset1:140
	v_fma_f32 v78, 0xbf788fa5, v115, -v233
	s_wait_loadcnt_dscnt 0x103
	v_mul_f32_e32 v58, v99, v65
	v_mul_f32_e32 v222, v98, v65
	s_wait_loadcnt_dscnt 0x2
	v_mul_f32_e32 v220, v72, v43
	s_wait_dscnt 0x1
	v_mul_f32_e32 v227, v102, v67
	s_wait_dscnt 0x0
	v_mul_f32_e32 v228, v106, v41
	v_fma_f32 v221, v98, v64, -v58
	v_fmac_f32_e32 v222, v99, v64
	v_fmac_f32_e32 v220, v73, v42
	v_dual_mul_f32 v58, v73, v43 :: v_dual_fmac_f32 v227, v103, v66
	v_fmac_f32_e32 v228, v107, v40
	s_delay_alu instid0(VALU_DEP_3) | instskip(NEXT) | instid1(VALU_DEP_3)
	v_sub_f32_e32 v217, v222, v220
	v_fma_f32 v223, v72, v42, -v58
	v_add_f32_e32 v73, v222, v220
	v_mul_f32_e32 v138, 0xbf6f5d39, v208
	v_add_f32_e32 v192, v46, v192
	v_mul_f32_e32 v58, 0x3f7e222b, v217
	v_add_f32_e32 v72, v221, v223
	v_sub_f32_e32 v219, v221, v223
	s_delay_alu instid0(VALU_DEP_2) | instskip(SKIP_1) | instid1(VALU_DEP_3)
	v_fma_f32 v224, 0x3df6dbef, v72, -v58
	v_fmac_f32_e32 v58, 0x3df6dbef, v72
	v_mul_f32_e32 v225, 0x3f7e222b, v219
	s_delay_alu instid0(VALU_DEP_2) | instskip(NEXT) | instid1(VALU_DEP_2)
	v_dual_mul_f32 v239, 0xbf52af12, v219 :: v_dual_add_f32 v52, v58, v52
	v_fma_f32 v58, 0x3df6dbef, v73, -v225
	s_delay_alu instid0(VALU_DEP_1) | instskip(SKIP_1) | instid1(VALU_DEP_2)
	v_dual_add_f32 v53, v58, v53 :: v_dual_mul_f32 v58, v103, v67
	v_add_f32_e32 v103, v227, v228
	v_fma_f32 v226, v102, v66, -v58
	v_mul_f32_e32 v58, v107, v41
	s_delay_alu instid0(VALU_DEP_1) | instskip(SKIP_1) | instid1(VALU_DEP_2)
	v_fma_f32 v229, v106, v40, -v58
	v_sub_f32_e32 v106, v227, v228
	v_add_f32_e32 v102, v226, v229
	s_delay_alu instid0(VALU_DEP_2) | instskip(NEXT) | instid1(VALU_DEP_1)
	v_dual_mul_f32 v58, 0x3eedf032, v106 :: v_dual_sub_f32 v107, v226, v229
	v_fma_f32 v230, 0x3f62ad3f, v102, -v58
	v_fmac_f32_e32 v58, 0x3f62ad3f, v102
	s_delay_alu instid0(VALU_DEP_3) | instskip(NEXT) | instid1(VALU_DEP_2)
	v_mul_f32_e32 v231, 0x3eedf032, v107
	v_dual_mul_f32 v241, 0xbf29c268, v107 :: v_dual_add_f32 v52, v58, v52
	s_delay_alu instid0(VALU_DEP_2) | instskip(NEXT) | instid1(VALU_DEP_1)
	v_fma_f32 v58, 0x3f62ad3f, v103, -v231
	v_add_f32_e32 v53, v58, v53
	v_mul_f32_e32 v58, 0xbf7e222b, v209
	s_delay_alu instid0(VALU_DEP_1) | instskip(SKIP_1) | instid1(VALU_DEP_2)
	v_fma_f32 v242, 0x3df6dbef, v207, -v58
	v_fmac_f32_e32 v58, 0x3df6dbef, v207
	v_add_f32_e32 v150, v46, v242
	s_delay_alu instid0(VALU_DEP_2) | instskip(NEXT) | instid1(VALU_DEP_1)
	v_add_f32_e32 v58, v46, v58
	v_add_f32_e32 v58, v59, v58
	v_fma_f32 v59, 0x3df6dbef, v206, -v243
	s_delay_alu instid0(VALU_DEP_1) | instskip(NEXT) | instid1(VALU_DEP_1)
	v_add_f32_e32 v59, v47, v59
	v_dual_add_f32 v59, v78, v59 :: v_dual_mul_f32 v78, 0x3f6f5d39, v120
	s_delay_alu instid0(VALU_DEP_1) | instskip(SKIP_1) | instid1(VALU_DEP_1)
	v_fma_f32 v234, 0xbeb58ec6, v116, -v78
	v_fmac_f32_e32 v78, 0xbeb58ec6, v116
	v_add_f32_e32 v58, v78, v58
	v_fma_f32 v78, 0xbeb58ec6, v119, -v235
	s_delay_alu instid0(VALU_DEP_1) | instskip(SKIP_2) | instid1(VALU_DEP_2)
	v_add_f32_e32 v59, v78, v59
	v_mul_f32_e32 v78, 0x3eedf032, v199
	v_fmamk_f32 v137, v206, 0x3df6dbef, v243
	v_fma_f32 v236, 0x3f62ad3f, v183, -v78
	s_delay_alu instid0(VALU_DEP_2) | instskip(NEXT) | instid1(VALU_DEP_1)
	v_dual_fmac_f32 v78, 0x3f62ad3f, v183 :: v_dual_add_f32 v137, v47, v137
	v_add_f32_e32 v58, v78, v58
	v_fma_f32 v78, 0x3f62ad3f, v191, -v237
	s_delay_alu instid0(VALU_DEP_1) | instskip(NEXT) | instid1(VALU_DEP_1)
	v_dual_add_f32 v59, v78, v59 :: v_dual_mul_f32 v78, 0xbf52af12, v217
	v_fma_f32 v238, 0x3f116cb1, v72, -v78
	v_fmac_f32_e32 v78, 0x3f116cb1, v72
	s_delay_alu instid0(VALU_DEP_1) | instskip(SKIP_1) | instid1(VALU_DEP_1)
	v_add_f32_e32 v58, v78, v58
	v_fma_f32 v78, 0x3f116cb1, v73, -v239
	v_dual_add_f32 v59, v78, v59 :: v_dual_mul_f32 v78, 0xbf29c268, v106
	s_delay_alu instid0(VALU_DEP_1) | instskip(SKIP_1) | instid1(VALU_DEP_1)
	v_fma_f32 v240, 0xbf3f9e67, v102, -v78
	v_fmac_f32_e32 v78, 0xbf3f9e67, v102
	v_add_f32_e32 v58, v78, v58
	v_fma_f32 v78, 0xbf3f9e67, v103, -v241
	s_delay_alu instid0(VALU_DEP_1) | instskip(NEXT) | instid1(VALU_DEP_1)
	v_dual_add_f32 v59, v78, v59 :: v_dual_and_b32 v78, 0xff, v77
	v_mul_lo_u16 v78, 0x4f, v78
	s_delay_alu instid0(VALU_DEP_1) | instskip(NEXT) | instid1(VALU_DEP_1)
	v_lshrrev_b16 v128, 11, v78
	v_mul_lo_u16 v78, v128, 26
	s_delay_alu instid0(VALU_DEP_1) | instskip(NEXT) | instid1(VALU_DEP_1)
	v_sub_nc_u16 v77, v77, v78
	v_dual_add_f32 v188, v47, v188 :: v_dual_and_b32 v129, 0xff, v77
	s_delay_alu instid0(VALU_DEP_1)
	v_mad_co_u64_u32 v[76:77], null, 0x60, v129, s[10:11]
	s_clause 0x5
	global_load_b128 v[96:99], v[76:77], off offset:192
	global_load_b128 v[92:95], v[76:77], off offset:208
	;; [unrolled: 1-line block ×6, first 2 shown]
	global_wb scope:SCOPE_SE
	s_wait_loadcnt 0x0
	s_barrier_signal -1
	s_barrier_wait -1
	global_inv scope:SCOPE_SE
	ds_store_2addr_b64 v130, v[58:59], v[52:53] offset0:4 offset1:30
	v_mul_f32_e32 v53, 0xbf29c268, v209
	v_mul_f32_e32 v58, 0xbeedf032, v208
	v_fmamk_f32 v208, v206, 0xbf3f9e67, v194
	v_fma_f32 v194, 0xbf3f9e67, v206, -v194
	s_delay_alu instid0(VALU_DEP_3) | instskip(SKIP_1) | instid1(VALU_DEP_3)
	v_fmamk_f32 v59, v206, 0x3f62ad3f, v58
	v_fma_f32 v58, 0x3f62ad3f, v206, -v58
	v_add_f32_e32 v154, v47, v194
	s_delay_alu instid0(VALU_DEP_3) | instskip(NEXT) | instid1(VALU_DEP_3)
	v_add_f32_e32 v59, v47, v59
	v_add_f32_e32 v148, v47, v58
	v_dual_mul_f32 v52, v45, v97 :: v_dual_mul_f32 v131, v56, v99
	v_mul_f32_e32 v133, v60, v83
	s_delay_alu instid0(VALU_DEP_2) | instskip(SKIP_1) | instid1(VALU_DEP_4)
	v_fma_f32 v52, v44, v96, -v52
	v_mul_f32_e32 v44, v44, v97
	v_dual_mul_f32 v136, v54, v79 :: v_dual_fmac_f32 v131, v57, v98
	s_delay_alu instid0(VALU_DEP_4) | instskip(NEXT) | instid1(VALU_DEP_3)
	v_fmac_f32_e32 v133, v61, v82
	v_fmac_f32_e32 v44, v45, v96
	v_mul_f32_e32 v45, v57, v99
	s_delay_alu instid0(VALU_DEP_1) | instskip(SKIP_3) | instid1(VALU_DEP_3)
	v_fma_f32 v130, v56, v98, -v45
	v_mul_f32_e32 v45, v63, v93
	v_fma_f32 v56, 0xbf3f9e67, v207, -v53
	v_fmac_f32_e32 v53, 0xbf3f9e67, v207
	v_fma_f32 v132, v62, v92, -v45
	v_dual_mul_f32 v62, v62, v93 :: v_dual_mul_f32 v45, v71, v95
	s_delay_alu instid0(VALU_DEP_4) | instskip(NEXT) | instid1(VALU_DEP_2)
	v_add_f32_e32 v152, v46, v56
	v_dual_add_f32 v153, v46, v53 :: v_dual_fmac_f32 v62, v63, v92
	s_delay_alu instid0(VALU_DEP_3) | instskip(SKIP_1) | instid1(VALU_DEP_1)
	v_fma_f32 v63, v70, v94, -v45
	v_dual_mul_f32 v70, v70, v95 :: v_dual_mul_f32 v45, v101, v89
	v_fmac_f32_e32 v70, v71, v94
	s_delay_alu instid0(VALU_DEP_2) | instskip(SKIP_1) | instid1(VALU_DEP_1)
	v_fma_f32 v71, v100, v88, -v45
	v_dual_mul_f32 v100, v100, v89 :: v_dual_mul_f32 v45, v105, v91
	v_fmac_f32_e32 v100, v101, v88
	s_delay_alu instid0(VALU_DEP_2) | instskip(SKIP_1) | instid1(VALU_DEP_1)
	;; [unrolled: 4-line block ×6, first 2 shown]
	v_fma_f32 v69, v60, v82, -v45
	v_mul_f32_e32 v45, v51, v77
	v_fma_f32 v61, v50, v76, -v45
	v_mul_f32_e32 v45, v55, v79
	s_delay_alu instid0(VALU_DEP_1) | instskip(SKIP_2) | instid1(VALU_DEP_1)
	v_fma_f32 v135, v54, v78, -v45
	v_mul_f32_e32 v45, 0xbeedf032, v209
	v_mul_f32_e32 v54, 0xbe750f2a, v209
	v_fma_f32 v57, 0xbf788fa5, v207, -v54
	s_delay_alu instid0(VALU_DEP_1) | instskip(NEXT) | instid1(VALU_DEP_1)
	v_dual_add_f32 v194, v46, v57 :: v_dual_add_f32 v57, v188, v182
	v_dual_add_f32 v57, v57, v190 :: v_dual_mul_f32 v134, v50, v77
	v_fma_f32 v50, 0x3f62ad3f, v207, -v45
	v_fmac_f32_e32 v45, 0x3f62ad3f, v207
	s_delay_alu instid0(VALU_DEP_3) | instskip(SKIP_3) | instid1(VALU_DEP_4)
	v_dual_add_f32 v57, v57, v215 :: v_dual_fmac_f32 v134, v51, v76
	v_mul_f32_e32 v51, 0xbf6f5d39, v209
	v_fmamk_f32 v209, v206, 0xbf788fa5, v195
	v_fma_f32 v195, 0xbf788fa5, v206, -v195
	v_add_f32_e32 v57, v57, v222
	v_fmac_f32_e32 v136, v55, v78
	v_fma_f32 v55, 0xbeb58ec6, v207, -v51
	v_fmac_f32_e32 v51, 0xbeb58ec6, v207
	v_fmac_f32_e32 v54, 0xbf788fa5, v207
	v_dual_add_f32 v57, v57, v227 :: v_dual_fmamk_f32 v60, v206, 0x3f116cb1, v210
	v_fmamk_f32 v207, v206, 0xbeb58ec6, v138
	v_fma_f32 v138, 0xbeb58ec6, v206, -v138
	v_sub_f32_e32 v206, v44, v136
	s_delay_alu instid0(VALU_DEP_4) | instskip(SKIP_2) | instid1(VALU_DEP_4)
	v_add_f32_e32 v57, v57, v228
	v_dual_add_f32 v254, v44, v136 :: v_dual_add_f32 v147, v46, v45
	v_add_f32_e32 v149, v47, v60
	v_mul_f32_e32 v243, 0xbeedf032, v206
	s_delay_alu instid0(VALU_DEP_4) | instskip(SKIP_3) | instid1(VALU_DEP_4)
	v_dual_add_f32 v57, v57, v220 :: v_dual_add_f32 v210, v52, v135
	v_mul_f32_e32 v245, 0xbf52af12, v206
	v_mul_f32_e32 v247, 0xbf7e222b, v206
	v_mul_f32_e32 v249, 0xbf6f5d39, v206
	v_dual_add_f32 v57, v57, v212 :: v_dual_mul_f32 v250, 0xbf29c268, v206
	v_mul_f32_e32 v206, 0xbe750f2a, v206
	v_fma_f32 v244, 0x3f62ad3f, v210, -v243
	v_fmac_f32_e32 v243, 0x3f62ad3f, v210
	v_fma_f32 v246, 0x3f116cb1, v210, -v245
	v_fmac_f32_e32 v245, 0x3f116cb1, v210
	;; [unrolled: 2-line block ×4, first 2 shown]
	v_fma_f32 v253, 0xbf788fa5, v210, -v206
	v_dual_fmac_f32 v206, 0xbf788fa5, v210 :: v_dual_add_f32 v57, v57, v185
	v_fma_f32 v252, 0xbf3f9e67, v210, -v250
	v_fmac_f32_e32 v250, 0xbf3f9e67, v210
	v_sub_f32_e32 v210, v52, v135
	v_add_f32_e32 v242, v46, v55
	v_add_f32_e32 v207, v47, v207
	v_dual_add_f32 v151, v46, v51 :: v_dual_add_f32 v138, v47, v138
	s_delay_alu instid0(VALU_DEP_4) | instskip(SKIP_3) | instid1(VALU_DEP_4)
	v_mul_f32_e32 v201, 0xbf52af12, v210
	v_mul_f32_e32 v255, 0xbeedf032, v210
	;; [unrolled: 1-line block ×4, first 2 shown]
	v_dual_add_f32 v208, v47, v208 :: v_dual_fmamk_f32 v139, v254, 0x3f116cb1, v201
	v_fma_f32 v140, 0x3f116cb1, v254, -v201
	v_mul_f32_e32 v201, 0xbf7e222b, v210
	v_fmamk_f32 v200, v254, 0x3f62ad3f, v255
	v_fma_f32 v255, 0x3f62ad3f, v254, -v255
	v_fmamk_f32 v145, v254, 0xbf3f9e67, v143
	v_fma_f32 v143, 0xbf3f9e67, v254, -v143
	;; [unrolled: 2-line block ×3, first 2 shown]
	v_mul_f32_e32 v201, 0xbf6f5d39, v210
	v_fmamk_f32 v146, v254, 0xbf788fa5, v144
	v_fma_f32 v144, 0xbf788fa5, v254, -v144
	v_add_f32_e32 v209, v47, v209
	v_add_f32_e32 v155, v46, v54
	v_fmamk_f32 v210, v254, 0xbeb58ec6, v201
	v_fma_f32 v201, 0xbeb58ec6, v254, -v201
	v_add_f32_e32 v254, v46, v50
	v_dual_add_f32 v156, v47, v195 :: v_dual_add_f32 v195, v48, v52
	v_add_f32_e32 v157, v49, v44
	v_add_f32_e32 v158, v48, v244
	;; [unrolled: 1-line block ×7, first 2 shown]
	v_dual_add_f32 v51, v48, v245 :: v_dual_add_f32 v50, v49, v140
	v_dual_add_f32 v140, v48, v248 :: v_dual_add_f32 v141, v49, v141
	;; [unrolled: 1-line block ×3, first 2 shown]
	v_add_f32_e32 v142, v48, v251
	v_dual_add_f32 v210, v49, v210 :: v_dual_add_f32 v55, v48, v249
	v_dual_add_f32 v54, v49, v201 :: v_dual_add_f32 v201, v48, v252
	v_add_f32_e32 v145, v49, v145
	v_dual_add_f32 v53, v48, v250 :: v_dual_add_f32 v52, v49, v143
	v_dual_add_f32 v143, v48, v253 :: v_dual_add_f32 v146, v49, v146
	v_add_f32_e32 v56, v48, v206
	v_dual_add_f32 v48, v49, v144 :: v_dual_add_f32 v49, v187, v127
	v_dual_add_f32 v58, v57, v124 :: v_dual_mul_f32 v187, 0xbe750f2a, v107
	v_mul_f32_e32 v188, 0x3e750f2a, v217
	s_delay_alu instid0(VALU_DEP_3) | instskip(NEXT) | instid1(VALU_DEP_3)
	v_dual_mul_f32 v190, 0x3f52af12, v106 :: v_dual_add_f32 v49, v49, v189
	v_dual_add_f32 v58, v58, v125 :: v_dual_mul_f32 v189, 0x3e750f2a, v219
	s_delay_alu instid0(VALU_DEP_2) | instskip(NEXT) | instid1(VALU_DEP_1)
	v_add_f32_e32 v49, v49, v214
	v_add_f32_e32 v49, v49, v221
	s_delay_alu instid0(VALU_DEP_1) | instskip(NEXT) | instid1(VALU_DEP_1)
	v_add_f32_e32 v49, v49, v226
	v_add_f32_e32 v49, v49, v229
	s_delay_alu instid0(VALU_DEP_1) | instskip(NEXT) | instid1(VALU_DEP_1)
	;; [unrolled: 3-line block ×3, first 2 shown]
	v_add_f32_e32 v49, v49, v186
	v_dual_mul_f32 v186, 0xbe750f2a, v106 :: v_dual_add_f32 v49, v49, v123
	v_mul_f32_e32 v123, 0xbf52af12, v118
	s_delay_alu instid0(VALU_DEP_2) | instskip(SKIP_1) | instid1(VALU_DEP_3)
	v_add_f32_e32 v57, v49, v126
	v_mul_f32_e32 v49, 0xbf52af12, v117
	v_fmamk_f32 v124, v115, 0x3f116cb1, v123
	s_delay_alu instid0(VALU_DEP_2) | instskip(NEXT) | instid1(VALU_DEP_2)
	v_fma_f32 v60, 0x3f116cb1, v114, -v49
	v_dual_add_f32 v59, v124, v59 :: v_dual_mul_f32 v124, 0xbf7e222b, v120
	v_fmac_f32_e32 v49, 0x3f116cb1, v114
	s_delay_alu instid0(VALU_DEP_3) | instskip(NEXT) | instid1(VALU_DEP_3)
	v_add_f32_e32 v60, v60, v254
	v_fma_f32 v125, 0x3df6dbef, v116, -v124
	s_delay_alu instid0(VALU_DEP_3) | instskip(NEXT) | instid1(VALU_DEP_2)
	v_add_f32_e32 v49, v49, v147
	v_add_f32_e32 v60, v125, v60
	v_mul_f32_e32 v125, 0xbf7e222b, v184
	s_delay_alu instid0(VALU_DEP_1) | instskip(NEXT) | instid1(VALU_DEP_1)
	v_fmamk_f32 v126, v119, 0x3df6dbef, v125
	v_add_f32_e32 v59, v126, v59
	v_mul_f32_e32 v126, 0xbf6f5d39, v199
	s_delay_alu instid0(VALU_DEP_1) | instskip(NEXT) | instid1(VALU_DEP_1)
	v_fma_f32 v127, 0xbeb58ec6, v183, -v126
	v_dual_add_f32 v60, v127, v60 :: v_dual_mul_f32 v127, 0xbf6f5d39, v211
	s_delay_alu instid0(VALU_DEP_1) | instskip(NEXT) | instid1(VALU_DEP_1)
	v_fmamk_f32 v144, v191, 0xbeb58ec6, v127
	v_dual_add_f32 v59, v144, v59 :: v_dual_mul_f32 v144, 0xbf29c268, v217
	s_delay_alu instid0(VALU_DEP_1) | instskip(NEXT) | instid1(VALU_DEP_1)
	v_fma_f32 v182, 0xbf3f9e67, v72, -v144
	v_add_f32_e32 v60, v182, v60
	v_mul_f32_e32 v182, 0xbf29c268, v219
	s_delay_alu instid0(VALU_DEP_1) | instskip(NEXT) | instid1(VALU_DEP_1)
	v_fmamk_f32 v185, v73, 0xbf3f9e67, v182
	v_add_f32_e32 v185, v185, v59
	v_fma_f32 v59, 0xbf788fa5, v102, -v186
	s_delay_alu instid0(VALU_DEP_1) | instskip(SKIP_1) | instid1(VALU_DEP_1)
	v_add_f32_e32 v59, v59, v60
	v_fmamk_f32 v60, v103, 0xbf788fa5, v187
	v_dual_add_f32 v60, v60, v185 :: v_dual_mul_f32 v185, 0xbf7e222b, v211
	ds_store_2addr_b64 v198, v[57:58], v[59:60] offset1:26
	v_dual_fmamk_f32 v58, v115, 0xbeb58ec6, v122 :: v_dual_add_f32 v57, v121, v192
	v_fmamk_f32 v59, v119, 0xbf788fa5, v205
	v_mul_f32_e32 v192, 0x3f52af12, v107
	s_delay_alu instid0(VALU_DEP_3) | instskip(SKIP_3) | instid1(VALU_DEP_4)
	v_dual_mul_f32 v205, 0xbf52af12, v120 :: v_dual_add_f32 v58, v58, v149
	v_fmamk_f32 v60, v115, 0xbf788fa5, v233
	v_fmamk_f32 v121, v119, 0xbeb58ec6, v235
	v_dual_add_f32 v57, v204, v57 :: v_dual_mul_f32 v122, 0x3f29c268, v118
	v_add_f32_e32 v58, v59, v58
	s_delay_alu instid0(VALU_DEP_4) | instskip(NEXT) | instid1(VALU_DEP_3)
	v_dual_fmamk_f32 v59, v191, 0xbf3f9e67, v218 :: v_dual_add_f32 v60, v60, v137
	v_add_f32_e32 v57, v216, v57
	v_mul_f32_e32 v137, 0x3eedf032, v120
	s_delay_alu instid0(VALU_DEP_3) | instskip(SKIP_4) | instid1(VALU_DEP_4)
	v_dual_mul_f32 v149, 0x3eedf032, v184 :: v_dual_add_f32 v58, v59, v58
	v_fmamk_f32 v59, v73, 0x3df6dbef, v225
	v_dual_add_f32 v60, v121, v60 :: v_dual_fmamk_f32 v121, v191, 0x3f62ad3f, v237
	v_add_f32_e32 v57, v224, v57
	v_fma_f32 v206, 0x3f116cb1, v116, -v205
	v_add_f32_e32 v58, v59, v58
	s_delay_alu instid0(VALU_DEP_4) | instskip(SKIP_2) | instid1(VALU_DEP_3)
	v_dual_fmamk_f32 v59, v103, 0x3f62ad3f, v231 :: v_dual_add_f32 v60, v121, v60
	v_fmamk_f32 v121, v73, 0x3f116cb1, v239
	v_add_f32_e32 v57, v230, v57
	v_dual_fmac_f32 v205, 0x3f116cb1, v116 :: v_dual_add_f32 v58, v59, v58
	s_delay_alu instid0(VALU_DEP_3) | instskip(SKIP_1) | instid1(VALU_DEP_1)
	v_dual_add_f32 v59, v232, v150 :: v_dual_add_f32 v60, v121, v60
	v_fmamk_f32 v121, v103, 0xbf3f9e67, v241
	v_dual_add_f32 v59, v234, v59 :: v_dual_add_f32 v60, v121, v60
	v_mul_f32_e32 v121, 0x3f29c268, v117
	s_delay_alu instid0(VALU_DEP_2) | instskip(NEXT) | instid1(VALU_DEP_1)
	v_add_f32_e32 v59, v236, v59
	v_add_f32_e32 v59, v238, v59
	s_delay_alu instid0(VALU_DEP_1)
	v_add_f32_e32 v59, v240, v59
	ds_store_2addr_b64 v198, v[57:58], v[59:60] offset0:52 offset1:78
	v_fma_f32 v57, 0xbf3f9e67, v114, -v121
	v_fmamk_f32 v58, v115, 0xbf3f9e67, v122
	v_fma_f32 v59, 0x3f62ad3f, v116, -v137
	v_fmac_f32_e32 v137, 0x3f62ad3f, v116
	s_delay_alu instid0(VALU_DEP_4) | instskip(NEXT) | instid1(VALU_DEP_4)
	v_dual_mul_f32 v150, 0xbf7e222b, v199 :: v_dual_add_f32 v57, v57, v242
	v_dual_add_f32 v58, v58, v207 :: v_dual_fmac_f32 v121, 0xbf3f9e67, v114
	v_mul_f32_e32 v204, 0x3f7e222b, v117
	s_delay_alu instid0(VALU_DEP_3) | instskip(SKIP_1) | instid1(VALU_DEP_1)
	v_add_f32_e32 v57, v59, v57
	v_fmamk_f32 v59, v119, 0x3f62ad3f, v149
	v_add_f32_e32 v58, v59, v58
	v_fma_f32 v59, 0x3df6dbef, v183, -v150
	s_delay_alu instid0(VALU_DEP_1) | instskip(SKIP_1) | instid1(VALU_DEP_1)
	v_add_f32_e32 v57, v59, v57
	v_dual_fmamk_f32 v59, v191, 0x3df6dbef, v185 :: v_dual_fmac_f32 v124, 0x3df6dbef, v116
	v_add_f32_e32 v58, v59, v58
	v_fma_f32 v59, 0xbf788fa5, v72, -v188
	s_delay_alu instid0(VALU_DEP_3) | instskip(NEXT) | instid1(VALU_DEP_2)
	v_add_f32_e32 v49, v124, v49
	v_add_f32_e32 v57, v59, v57
	v_fmamk_f32 v59, v73, 0xbf788fa5, v189
	v_fmac_f32_e32 v126, 0xbeb58ec6, v183
	s_delay_alu instid0(VALU_DEP_2) | instskip(SKIP_1) | instid1(VALU_DEP_3)
	v_add_f32_e32 v58, v59, v58
	v_fma_f32 v59, 0x3f116cb1, v102, -v190
	v_add_f32_e32 v49, v126, v49
	s_delay_alu instid0(VALU_DEP_2) | instskip(SKIP_1) | instid1(VALU_DEP_1)
	v_add_f32_e32 v57, v59, v57
	v_fmamk_f32 v59, v103, 0x3f116cb1, v192
	v_add_f32_e32 v58, v59, v58
	v_fma_f32 v59, 0x3df6dbef, v114, -v204
	s_delay_alu instid0(VALU_DEP_1) | instskip(NEXT) | instid1(VALU_DEP_1)
	v_dual_add_f32 v59, v59, v152 :: v_dual_mul_f32 v152, 0x3f7e222b, v118
	v_dual_fmac_f32 v144, 0xbf3f9e67, v72 :: v_dual_add_f32 v59, v206, v59
	s_delay_alu instid0(VALU_DEP_2) | instskip(NEXT) | instid1(VALU_DEP_2)
	v_fmamk_f32 v60, v115, 0x3df6dbef, v152
	v_dual_mul_f32 v206, 0xbf52af12, v184 :: v_dual_add_f32 v49, v144, v49
	s_delay_alu instid0(VALU_DEP_1) | instskip(NEXT) | instid1(VALU_DEP_1)
	v_dual_add_f32 v60, v60, v208 :: v_dual_fmamk_f32 v207, v119, 0x3f116cb1, v206
	v_dual_add_f32 v60, v207, v60 :: v_dual_mul_f32 v207, 0x3e750f2a, v199
	s_delay_alu instid0(VALU_DEP_1) | instskip(SKIP_1) | instid1(VALU_DEP_2)
	v_fma_f32 v208, 0xbf788fa5, v183, -v207
	v_fmac_f32_e32 v207, 0xbf788fa5, v183
	v_add_f32_e32 v59, v208, v59
	v_mul_f32_e32 v208, 0x3e750f2a, v211
	s_delay_alu instid0(VALU_DEP_1) | instskip(NEXT) | instid1(VALU_DEP_1)
	v_fmamk_f32 v212, v191, 0xbf788fa5, v208
	v_add_f32_e32 v60, v212, v60
	v_mul_f32_e32 v212, 0x3eedf032, v217
	s_delay_alu instid0(VALU_DEP_1) | instskip(NEXT) | instid1(VALU_DEP_1)
	v_fma_f32 v213, 0x3f62ad3f, v72, -v212
	v_add_f32_e32 v59, v213, v59
	v_mul_f32_e32 v213, 0x3eedf032, v219
	s_delay_alu instid0(VALU_DEP_1) | instskip(NEXT) | instid1(VALU_DEP_1)
	v_fmamk_f32 v214, v73, 0x3f62ad3f, v213
	v_add_f32_e32 v60, v214, v60
	v_mul_f32_e32 v214, 0xbf6f5d39, v106
	v_mul_f32_e32 v106, 0x3f7e222b, v106
	s_delay_alu instid0(VALU_DEP_2) | instskip(NEXT) | instid1(VALU_DEP_1)
	v_fma_f32 v215, 0xbeb58ec6, v102, -v214
	v_dual_fmac_f32 v214, 0xbeb58ec6, v102 :: v_dual_add_f32 v59, v215, v59
	v_mul_f32_e32 v215, 0xbf6f5d39, v107
	v_fmac_f32_e32 v186, 0xbf788fa5, v102
	v_mul_f32_e32 v107, 0x3f7e222b, v107
	s_delay_alu instid0(VALU_DEP_3) | instskip(NEXT) | instid1(VALU_DEP_1)
	v_fmamk_f32 v216, v103, 0xbeb58ec6, v215
	v_add_f32_e32 v60, v216, v60
	ds_store_2addr_b64 v198, v[57:58], v[59:60] offset0:104 offset1:130
	v_mul_f32_e32 v59, 0x3eedf032, v117
	v_mul_f32_e32 v117, 0xbf29c268, v120
	;; [unrolled: 1-line block ×3, first 2 shown]
	s_delay_alu instid0(VALU_DEP_3) | instskip(NEXT) | instid1(VALU_DEP_3)
	v_fma_f32 v57, 0x3f62ad3f, v114, -v59
	v_fma_f32 v118, 0xbf3f9e67, v116, -v117
	s_delay_alu instid0(VALU_DEP_3) | instskip(SKIP_1) | instid1(VALU_DEP_4)
	v_dual_fmamk_f32 v58, v115, 0x3f62ad3f, v60 :: v_dual_fmac_f32 v59, 0x3f62ad3f, v114
	v_fma_f32 v60, 0x3f62ad3f, v115, -v60
	v_add_f32_e32 v57, v57, v194
	s_delay_alu instid0(VALU_DEP_3) | instskip(NEXT) | instid1(VALU_DEP_3)
	v_dual_fmac_f32 v117, 0xbf3f9e67, v116 :: v_dual_add_f32 v58, v58, v209
	v_dual_add_f32 v59, v59, v155 :: v_dual_add_f32 v60, v60, v156
	s_delay_alu instid0(VALU_DEP_3) | instskip(NEXT) | instid1(VALU_DEP_2)
	v_dual_add_f32 v57, v118, v57 :: v_dual_mul_f32 v118, 0xbf29c268, v184
	v_dual_fmac_f32 v188, 0xbf788fa5, v72 :: v_dual_add_f32 v59, v117, v59
	v_add_f32_e32 v116, v62, v133
	s_delay_alu instid0(VALU_DEP_3) | instskip(SKIP_1) | instid1(VALU_DEP_2)
	v_fmamk_f32 v120, v119, 0xbf3f9e67, v118
	v_fma_f32 v117, 0xbf3f9e67, v119, -v118
	v_add_f32_e32 v58, v120, v58
	v_mul_f32_e32 v120, 0x3f52af12, v199
	s_delay_alu instid0(VALU_DEP_3) | instskip(NEXT) | instid1(VALU_DEP_2)
	v_add_f32_e32 v60, v117, v60
	v_fma_f32 v184, 0x3f116cb1, v183, -v120
	s_delay_alu instid0(VALU_DEP_1) | instskip(SKIP_1) | instid1(VALU_DEP_1)
	v_dual_fmac_f32 v120, 0x3f116cb1, v183 :: v_dual_add_f32 v57, v184, v57
	v_mul_f32_e32 v184, 0x3f52af12, v211
	v_dual_add_f32 v59, v120, v59 :: v_dual_fmamk_f32 v194, v191, 0x3f116cb1, v184
	v_fma_f32 v117, 0x3f116cb1, v191, -v184
	s_delay_alu instid0(VALU_DEP_2) | instskip(SKIP_1) | instid1(VALU_DEP_3)
	v_add_f32_e32 v58, v194, v58
	v_mul_f32_e32 v194, 0xbf6f5d39, v217
	v_add_f32_e32 v60, v117, v60
	s_delay_alu instid0(VALU_DEP_2) | instskip(NEXT) | instid1(VALU_DEP_1)
	v_fma_f32 v199, 0xbeb58ec6, v72, -v194
	v_dual_fmac_f32 v194, 0xbeb58ec6, v72 :: v_dual_add_f32 v57, v199, v57
	v_mul_f32_e32 v199, 0xbf6f5d39, v219
	s_delay_alu instid0(VALU_DEP_2) | instskip(NEXT) | instid1(VALU_DEP_2)
	v_dual_add_f32 v59, v194, v59 :: v_dual_fmac_f32 v190, 0x3f116cb1, v102
	v_fmamk_f32 v209, v73, 0xbeb58ec6, v199
	v_fma_f32 v117, 0xbeb58ec6, v73, -v199
	s_delay_alu instid0(VALU_DEP_2) | instskip(SKIP_1) | instid1(VALU_DEP_3)
	v_add_f32_e32 v58, v209, v58
	v_fma_f32 v209, 0x3df6dbef, v102, -v106
	v_add_f32_e32 v60, v117, v60
	v_fmac_f32_e32 v106, 0x3df6dbef, v102
	s_delay_alu instid0(VALU_DEP_3) | instskip(SKIP_2) | instid1(VALU_DEP_2)
	v_dual_add_f32 v102, v131, v134 :: v_dual_add_f32 v57, v209, v57
	v_fmamk_f32 v209, v103, 0x3df6dbef, v107
	v_fma_f32 v107, 0x3df6dbef, v103, -v107
	v_dual_add_f32 v59, v106, v59 :: v_dual_add_f32 v58, v209, v58
	s_delay_alu instid0(VALU_DEP_2)
	v_add_f32_e32 v60, v107, v60
	ds_store_2addr_b64 v198, v[57:58], v[59:60] offset0:156 offset1:182
	v_fma_f32 v58, 0xbf3f9e67, v115, -v122
	v_add_f32_e32 v57, v121, v151
	v_fma_f32 v59, 0x3f62ad3f, v119, -v149
	v_fmac_f32_e32 v204, 0x3df6dbef, v114
	v_add_f32_e32 v114, v132, v69
	v_add_f32_e32 v58, v58, v138
	s_delay_alu instid0(VALU_DEP_1) | instskip(SKIP_2) | instid1(VALU_DEP_1)
	v_dual_add_f32 v58, v59, v58 :: v_dual_add_f32 v57, v137, v57
	v_fmac_f32_e32 v150, 0x3df6dbef, v183
	v_fma_f32 v59, 0x3df6dbef, v191, -v185
	v_dual_add_f32 v57, v150, v57 :: v_dual_add_f32 v58, v59, v58
	v_fma_f32 v59, 0xbf788fa5, v73, -v189
	s_delay_alu instid0(VALU_DEP_2) | instskip(SKIP_1) | instid1(VALU_DEP_3)
	v_add_f32_e32 v57, v188, v57
	v_fma_f32 v60, 0x3df6dbef, v115, -v152
	v_add_f32_e32 v58, v59, v58
	v_fma_f32 v59, 0x3f116cb1, v103, -v192
	s_delay_alu instid0(VALU_DEP_3) | instskip(NEXT) | instid1(VALU_DEP_2)
	v_dual_add_f32 v57, v190, v57 :: v_dual_add_f32 v60, v60, v154
	v_dual_add_f32 v58, v59, v58 :: v_dual_add_f32 v59, v204, v153
	v_fma_f32 v106, 0x3f116cb1, v119, -v206
	s_delay_alu instid0(VALU_DEP_1) | instskip(SKIP_1) | instid1(VALU_DEP_2)
	v_dual_add_f32 v59, v205, v59 :: v_dual_add_f32 v60, v106, v60
	v_fma_f32 v106, 0xbf788fa5, v191, -v208
	v_dual_add_f32 v59, v207, v59 :: v_dual_fmac_f32 v212, 0x3f62ad3f, v72
	s_delay_alu instid0(VALU_DEP_2) | instskip(SKIP_1) | instid1(VALU_DEP_3)
	v_add_f32_e32 v60, v106, v60
	v_fma_f32 v106, 0x3f62ad3f, v73, -v213
	v_dual_add_f32 v72, v130, v61 :: v_dual_add_f32 v59, v212, v59
	s_delay_alu instid0(VALU_DEP_2) | instskip(SKIP_1) | instid1(VALU_DEP_3)
	v_add_f32_e32 v60, v106, v60
	v_fma_f32 v106, 0xbeb58ec6, v103, -v215
	v_add_f32_e32 v59, v214, v59
	s_delay_alu instid0(VALU_DEP_2)
	v_add_f32_e32 v60, v106, v60
	ds_store_2addr_b64 v198, v[59:60], v[57:58] offset0:208 offset1:234
	v_fma_f32 v57, 0x3f116cb1, v115, -v123
	v_fma_f32 v58, 0x3df6dbef, v119, -v125
	;; [unrolled: 1-line block ×3, first 2 shown]
	v_sub_f32_e32 v115, v62, v133
	s_delay_alu instid0(VALU_DEP_4) | instskip(NEXT) | instid1(VALU_DEP_2)
	v_add_f32_e32 v57, v57, v148
	v_mul_f32_e32 v117, 0xbf7e222b, v115
	v_mul_f32_e32 v147, 0x3eedf032, v115
	s_delay_alu instid0(VALU_DEP_3) | instskip(SKIP_1) | instid1(VALU_DEP_1)
	v_add_f32_e32 v57, v58, v57
	v_fma_f32 v58, 0xbeb58ec6, v191, -v127
	v_add_f32_e32 v57, v58, v57
	v_fma_f32 v58, 0xbf3f9e67, v73, -v182
	s_delay_alu instid0(VALU_DEP_1) | instskip(SKIP_2) | instid1(VALU_DEP_3)
	v_dual_sub_f32 v73, v131, v134 :: v_dual_add_f32 v58, v58, v57
	v_add_f32_e32 v57, v186, v49
	v_add_f32_e32 v49, v195, v130
	v_mul_f32_e32 v103, 0xbf52af12, v73
	s_delay_alu instid0(VALU_DEP_4) | instskip(SKIP_1) | instid1(VALU_DEP_4)
	v_dual_mul_f32 v155, 0x3f7e222b, v73 :: v_dual_add_f32 v58, v59, v58
	v_add_f32_e32 v59, v157, v131
	v_add_f32_e32 v49, v49, v132
	s_delay_alu instid0(VALU_DEP_2) | instskip(NEXT) | instid1(VALU_DEP_2)
	v_add_f32_e32 v59, v59, v62
	v_add_f32_e32 v49, v49, v63
	v_fma_f32 v62, 0x3df6dbef, v114, -v117
	s_delay_alu instid0(VALU_DEP_3) | instskip(NEXT) | instid1(VALU_DEP_3)
	v_add_f32_e32 v59, v59, v70
	v_add_f32_e32 v49, v49, v71
	s_delay_alu instid0(VALU_DEP_2) | instskip(NEXT) | instid1(VALU_DEP_2)
	v_add_f32_e32 v59, v59, v100
	v_add_f32_e32 v49, v49, v101
	s_delay_alu instid0(VALU_DEP_2) | instskip(NEXT) | instid1(VALU_DEP_2)
	v_add_f32_e32 v59, v59, v104
	v_add_f32_e32 v49, v49, v105
	s_delay_alu instid0(VALU_DEP_2) | instskip(NEXT) | instid1(VALU_DEP_2)
	v_add_f32_e32 v59, v59, v108
	v_add_f32_e32 v49, v49, v109
	s_delay_alu instid0(VALU_DEP_2) | instskip(NEXT) | instid1(VALU_DEP_2)
	v_add_f32_e32 v59, v59, v74
	v_add_f32_e32 v49, v49, v75
	s_delay_alu instid0(VALU_DEP_2) | instskip(NEXT) | instid1(VALU_DEP_2)
	v_add_f32_e32 v59, v59, v68
	v_add_f32_e32 v49, v49, v69
	v_sub_f32_e32 v69, v132, v69
	v_mul_f32_e32 v132, 0xbe750f2a, v73
	s_delay_alu instid0(VALU_DEP_4) | instskip(NEXT) | instid1(VALU_DEP_4)
	v_add_f32_e32 v59, v59, v133
	v_add_f32_e32 v49, v49, v61
	s_delay_alu instid0(VALU_DEP_4) | instskip(SKIP_2) | instid1(VALU_DEP_4)
	v_mul_f32_e32 v118, 0xbf7e222b, v69
	v_mul_f32_e32 v125, 0xbe750f2a, v69
	;; [unrolled: 1-line block ×3, first 2 shown]
	v_dual_add_f32 v60, v59, v134 :: v_dual_add_f32 v59, v49, v135
	v_sub_f32_e32 v49, v130, v61
	v_fma_f32 v61, 0x3f116cb1, v72, -v103
	v_mul_f32_e32 v134, 0x3f6f5d39, v115
	s_delay_alu instid0(VALU_DEP_2) | instskip(SKIP_2) | instid1(VALU_DEP_3)
	v_dual_mul_f32 v106, 0xbf52af12, v49 :: v_dual_add_f32 v61, v61, v158
	v_mul_f32_e32 v133, 0xbe750f2a, v49
	v_mul_f32_e32 v156, 0x3f7e222b, v49
	v_fmamk_f32 v107, v102, 0x3f116cb1, v106
	s_delay_alu instid0(VALU_DEP_4) | instskip(NEXT) | instid1(VALU_DEP_2)
	v_dual_add_f32 v61, v62, v61 :: v_dual_fmamk_f32 v62, v116, 0x3df6dbef, v118
	v_add_f32_e32 v107, v107, v200
	s_delay_alu instid0(VALU_DEP_1) | instskip(SKIP_3) | instid1(VALU_DEP_2)
	v_add_f32_e32 v62, v62, v107
	v_add_f32_e32 v107, v63, v75
	v_sub_f32_e32 v63, v63, v75
	v_sub_f32_e32 v75, v70, v68
	v_dual_add_f32 v68, v70, v68 :: v_dual_mul_f32 v127, 0x3f29c268, v63
	s_delay_alu instid0(VALU_DEP_2) | instskip(SKIP_3) | instid1(VALU_DEP_4)
	v_mul_f32_e32 v70, 0xbf6f5d39, v75
	v_mul_f32_e32 v126, 0x3f29c268, v75
	;; [unrolled: 1-line block ×4, first 2 shown]
	v_fma_f32 v119, 0xbeb58ec6, v107, -v70
	s_delay_alu instid0(VALU_DEP_1)
	v_add_f32_e32 v61, v119, v61
	v_mul_f32_e32 v119, 0xbf6f5d39, v63
	ds_store_b64 v198, v[57:58] offset:2496
	v_and_b32_e32 v57, 0xffff, v128
	v_fma_f32 v135, 0xbeb58ec6, v114, -v134
	v_fmac_f32_e32 v117, 0x3df6dbef, v114
	v_fmamk_f32 v120, v68, 0xbeb58ec6, v119
	s_delay_alu instid0(VALU_DEP_4) | instskip(NEXT) | instid1(VALU_DEP_2)
	v_mul_u32_u24_e32 v57, 0x152, v57
	v_add_f32_e32 v62, v120, v62
	v_add_f32_e32 v120, v71, v109
	v_sub_f32_e32 v71, v71, v109
	v_sub_f32_e32 v109, v100, v74
	v_add_f32_e32 v74, v100, v74
	v_add_lshl_u32 v199, v57, v129, 3
	v_fmac_f32_e32 v103, 0x3f116cb1, v72
	v_mul_f32_e32 v129, 0x3f7e222b, v71
	v_mul_f32_e32 v100, 0xbf29c268, v109
	;; [unrolled: 1-line block ×3, first 2 shown]
	v_dual_mul_f32 v151, 0x3e750f2a, v109 :: v_dual_mul_f32 v152, 0x3e750f2a, v71
	v_add_f32_e32 v44, v103, v44
	s_delay_alu instid0(VALU_DEP_4) | instskip(NEXT) | instid1(VALU_DEP_2)
	v_fma_f32 v121, 0xbf3f9e67, v120, -v100
	v_add_f32_e32 v44, v117, v44
	s_delay_alu instid0(VALU_DEP_2) | instskip(SKIP_1) | instid1(VALU_DEP_1)
	v_dual_add_f32 v61, v121, v61 :: v_dual_add_f32 v60, v60, v136
	v_mul_f32_e32 v121, 0xbf29c268, v71
	v_fmamk_f32 v122, v74, 0xbf3f9e67, v121
	s_delay_alu instid0(VALU_DEP_1) | instskip(SKIP_3) | instid1(VALU_DEP_2)
	v_add_f32_e32 v62, v122, v62
	v_add_f32_e32 v122, v101, v105
	v_sub_f32_e32 v101, v101, v105
	v_sub_f32_e32 v105, v104, v108
	v_dual_add_f32 v104, v104, v108 :: v_dual_mul_f32 v131, 0x3eedf032, v101
	s_delay_alu instid0(VALU_DEP_2) | instskip(SKIP_3) | instid1(VALU_DEP_4)
	v_mul_f32_e32 v108, 0xbe750f2a, v105
	v_mul_f32_e32 v130, 0x3eedf032, v105
	;; [unrolled: 1-line block ×4, first 2 shown]
	v_fma_f32 v123, 0xbf788fa5, v122, -v108
	s_delay_alu instid0(VALU_DEP_1) | instskip(SKIP_1) | instid1(VALU_DEP_1)
	v_add_f32_e32 v61, v123, v61
	v_mul_f32_e32 v123, 0xbe750f2a, v101
	v_fmamk_f32 v124, v104, 0xbf788fa5, v123
	s_delay_alu instid0(VALU_DEP_1)
	v_add_f32_e32 v62, v124, v62
	v_mul_f32_e32 v124, 0xbe750f2a, v115
	ds_store_2addr_b64 v199, v[59:60], v[61:62] offset1:26
	v_mul_f32_e32 v61, 0xbf6f5d39, v73
	v_mul_f32_e32 v62, 0xbf6f5d39, v49
	v_fma_f32 v59, 0xbf788fa5, v114, -v124
	v_fmamk_f32 v60, v102, 0xbf788fa5, v133
	v_fmac_f32_e32 v124, 0xbf788fa5, v114
	v_fma_f32 v57, 0xbeb58ec6, v72, -v61
	v_dual_fmamk_f32 v58, v102, 0xbeb58ec6, v62 :: v_dual_fmac_f32 v61, 0xbeb58ec6, v72
	s_delay_alu instid0(VALU_DEP_2) | instskip(NEXT) | instid1(VALU_DEP_1)
	v_dual_add_f32 v60, v60, v141 :: v_dual_add_f32 v57, v57, v243
	v_dual_add_f32 v58, v58, v139 :: v_dual_add_f32 v57, v59, v57
	v_fmamk_f32 v59, v116, 0xbf788fa5, v125
	v_fmac_f32_e32 v70, 0xbeb58ec6, v107
	s_delay_alu instid0(VALU_DEP_2) | instskip(SKIP_1) | instid1(VALU_DEP_1)
	v_add_f32_e32 v58, v59, v58
	v_fma_f32 v59, 0xbf3f9e67, v107, -v126
	v_dual_add_f32 v44, v70, v44 :: v_dual_add_f32 v57, v59, v57
	v_fmamk_f32 v59, v68, 0xbf3f9e67, v127
	s_delay_alu instid0(VALU_DEP_1) | instskip(SKIP_1) | instid1(VALU_DEP_1)
	v_add_f32_e32 v58, v59, v58
	v_fma_f32 v59, 0x3df6dbef, v120, -v128
	v_add_f32_e32 v57, v59, v57
	v_fmamk_f32 v59, v74, 0x3df6dbef, v129
	s_delay_alu instid0(VALU_DEP_1) | instskip(SKIP_1) | instid1(VALU_DEP_1)
	v_add_f32_e32 v58, v59, v58
	v_fma_f32 v59, 0x3f62ad3f, v122, -v130
	v_dual_fmac_f32 v130, 0x3f62ad3f, v122 :: v_dual_add_f32 v57, v59, v57
	v_fmamk_f32 v59, v104, 0x3f62ad3f, v131
	s_delay_alu instid0(VALU_DEP_1) | instskip(SKIP_1) | instid1(VALU_DEP_1)
	v_add_f32_e32 v58, v59, v58
	v_fma_f32 v59, 0xbf788fa5, v72, -v132
	v_add_f32_e32 v59, v59, v140
	s_delay_alu instid0(VALU_DEP_1) | instskip(SKIP_2) | instid1(VALU_DEP_2)
	v_add_f32_e32 v59, v135, v59
	v_mul_f32_e32 v135, 0x3f6f5d39, v69
	v_fmac_f32_e32 v100, 0xbf3f9e67, v120
	v_fmamk_f32 v136, v116, 0xbeb58ec6, v135
	s_delay_alu instid0(VALU_DEP_2) | instskip(NEXT) | instid1(VALU_DEP_2)
	v_add_f32_e32 v44, v100, v44
	v_add_f32_e32 v60, v136, v60
	v_mul_f32_e32 v136, 0x3eedf032, v75
	s_delay_alu instid0(VALU_DEP_1) | instskip(NEXT) | instid1(VALU_DEP_1)
	v_fma_f32 v137, 0x3f62ad3f, v107, -v136
	v_add_f32_e32 v59, v137, v59
	v_mul_f32_e32 v137, 0x3eedf032, v63
	v_fmac_f32_e32 v108, 0xbf788fa5, v122
	s_delay_alu instid0(VALU_DEP_2) | instskip(NEXT) | instid1(VALU_DEP_1)
	v_fmamk_f32 v138, v68, 0x3f62ad3f, v137
	v_add_f32_e32 v60, v138, v60
	v_mul_f32_e32 v138, 0xbf52af12, v109
	s_delay_alu instid0(VALU_DEP_1) | instskip(NEXT) | instid1(VALU_DEP_1)
	v_fma_f32 v139, 0x3f116cb1, v120, -v138
	v_add_f32_e32 v59, v139, v59
	v_mul_f32_e32 v139, 0xbf52af12, v71
	s_delay_alu instid0(VALU_DEP_1) | instskip(NEXT) | instid1(VALU_DEP_1)
	v_fmamk_f32 v140, v74, 0x3f116cb1, v139
	v_add_f32_e32 v60, v140, v60
	v_mul_f32_e32 v140, 0xbf29c268, v105
	s_delay_alu instid0(VALU_DEP_1) | instskip(NEXT) | instid1(VALU_DEP_1)
	v_fma_f32 v141, 0xbf3f9e67, v122, -v140
	v_add_f32_e32 v59, v141, v59
	v_mul_f32_e32 v141, 0xbf29c268, v101
	s_delay_alu instid0(VALU_DEP_1) | instskip(NEXT) | instid1(VALU_DEP_1)
	v_fmamk_f32 v144, v104, 0xbf3f9e67, v141
	v_add_f32_e32 v60, v144, v60
	v_mul_f32_e32 v144, 0x3f29c268, v73
	ds_store_2addr_b64 v199, v[57:58], v[59:60] offset0:52 offset1:78
	v_fma_f32 v57, 0xbf3f9e67, v72, -v144
	v_fma_f32 v59, 0x3f62ad3f, v114, -v147
	v_fmamk_f32 v60, v102, 0x3df6dbef, v156
	v_fmac_f32_e32 v147, 0x3f62ad3f, v114
	s_delay_alu instid0(VALU_DEP_4) | instskip(NEXT) | instid1(VALU_DEP_3)
	v_dual_add_f32 v57, v57, v142 :: v_dual_mul_f32 v142, 0x3f29c268, v49
	v_dual_add_f32 v60, v60, v145 :: v_dual_mul_f32 v145, 0xbf52af12, v115
	v_mul_f32_e32 v49, 0x3eedf032, v49
	s_delay_alu instid0(VALU_DEP_3) | instskip(SKIP_1) | instid1(VALU_DEP_4)
	v_dual_add_f32 v57, v59, v57 :: v_dual_fmamk_f32 v58, v102, 0xbf3f9e67, v142
	v_fmamk_f32 v59, v116, 0x3f62ad3f, v148
	v_fma_f32 v157, 0x3f116cb1, v114, -v145
	v_dual_fmac_f32 v145, 0x3f116cb1, v114 :: v_dual_fmac_f32 v138, 0x3f116cb1, v120
	s_delay_alu instid0(VALU_DEP_4) | instskip(NEXT) | instid1(VALU_DEP_1)
	v_add_f32_e32 v58, v58, v210
	v_add_f32_e32 v58, v59, v58
	v_fma_f32 v59, 0x3df6dbef, v107, -v149
	v_fmac_f32_e32 v149, 0x3df6dbef, v107
	s_delay_alu instid0(VALU_DEP_2) | instskip(SKIP_2) | instid1(VALU_DEP_2)
	v_add_f32_e32 v57, v59, v57
	v_fmamk_f32 v59, v68, 0x3df6dbef, v150
	v_fmac_f32_e32 v134, 0xbeb58ec6, v114
	v_add_f32_e32 v58, v59, v58
	v_fma_f32 v59, 0xbf788fa5, v120, -v151
	s_delay_alu instid0(VALU_DEP_1) | instskip(SKIP_1) | instid1(VALU_DEP_1)
	v_add_f32_e32 v57, v59, v57
	v_fmamk_f32 v59, v74, 0xbf788fa5, v152
	v_add_f32_e32 v58, v59, v58
	v_fma_f32 v59, 0x3f116cb1, v122, -v153
	v_fmac_f32_e32 v153, 0x3f116cb1, v122
	s_delay_alu instid0(VALU_DEP_2) | instskip(SKIP_2) | instid1(VALU_DEP_2)
	v_add_f32_e32 v57, v59, v57
	v_fmamk_f32 v59, v104, 0x3f116cb1, v154
	v_fmac_f32_e32 v136, 0x3f62ad3f, v107
	v_add_f32_e32 v58, v59, v58
	v_fma_f32 v59, 0x3df6dbef, v72, -v155
	v_fmac_f32_e32 v155, 0x3df6dbef, v72
	s_delay_alu instid0(VALU_DEP_2) | instskip(NEXT) | instid1(VALU_DEP_2)
	v_add_f32_e32 v59, v59, v201
	v_add_f32_e32 v53, v155, v53
	s_delay_alu instid0(VALU_DEP_2) | instskip(SKIP_2) | instid1(VALU_DEP_2)
	v_add_f32_e32 v59, v157, v59
	v_mul_f32_e32 v157, 0xbf52af12, v69
	v_mul_f32_e32 v69, 0xbf29c268, v69
	v_dual_add_f32 v53, v145, v53 :: v_dual_fmamk_f32 v158, v116, 0x3f116cb1, v157
	s_delay_alu instid0(VALU_DEP_1) | instskip(SKIP_1) | instid1(VALU_DEP_1)
	v_add_f32_e32 v60, v158, v60
	v_mul_f32_e32 v158, 0x3e750f2a, v75
	v_fma_f32 v182, 0xbf788fa5, v107, -v158
	s_delay_alu instid0(VALU_DEP_1) | instskip(SKIP_3) | instid1(VALU_DEP_3)
	v_add_f32_e32 v59, v182, v59
	v_mul_f32_e32 v182, 0x3e750f2a, v63
	v_mul_f32_e32 v63, 0x3f52af12, v63
	v_fmac_f32_e32 v132, 0xbf788fa5, v72
	v_fmamk_f32 v183, v68, 0xbf788fa5, v182
	s_delay_alu instid0(VALU_DEP_1) | instskip(SKIP_1) | instid1(VALU_DEP_2)
	v_dual_add_f32 v47, v132, v47 :: v_dual_add_f32 v60, v183, v60
	v_mul_f32_e32 v183, 0x3eedf032, v109
	v_add_f32_e32 v47, v134, v47
	s_delay_alu instid0(VALU_DEP_2) | instskip(SKIP_1) | instid1(VALU_DEP_3)
	v_fma_f32 v184, 0x3f62ad3f, v120, -v183
	v_fmac_f32_e32 v183, 0x3f62ad3f, v120
	v_add_f32_e32 v47, v136, v47
	s_delay_alu instid0(VALU_DEP_3) | instskip(SKIP_2) | instid1(VALU_DEP_4)
	v_add_f32_e32 v59, v184, v59
	v_mul_f32_e32 v184, 0x3eedf032, v71
	v_mul_f32_e32 v71, 0xbf6f5d39, v71
	v_dual_add_f32 v47, v138, v47 :: v_dual_fmac_f32 v140, 0xbf3f9e67, v122
	s_delay_alu instid0(VALU_DEP_3) | instskip(NEXT) | instid1(VALU_DEP_1)
	v_fmamk_f32 v185, v74, 0x3f62ad3f, v184
	v_dual_add_f32 v60, v185, v60 :: v_dual_mul_f32 v185, 0xbf6f5d39, v105
	s_delay_alu instid0(VALU_DEP_1) | instskip(SKIP_1) | instid1(VALU_DEP_2)
	v_fma_f32 v186, 0xbeb58ec6, v122, -v185
	v_fmac_f32_e32 v185, 0xbeb58ec6, v122
	v_dual_add_f32 v59, v186, v59 :: v_dual_mul_f32 v186, 0xbf6f5d39, v101
	s_delay_alu instid0(VALU_DEP_1) | instskip(NEXT) | instid1(VALU_DEP_1)
	v_fmamk_f32 v187, v104, 0xbeb58ec6, v186
	v_add_f32_e32 v60, v187, v60
	ds_store_2addr_b64 v199, v[57:58], v[59:60] offset0:104 offset1:130
	v_mul_f32_e32 v59, 0x3eedf032, v73
	v_mul_f32_e32 v60, 0xbf29c268, v115
	v_fmamk_f32 v58, v102, 0x3f62ad3f, v49
	v_fma_f32 v49, 0x3f62ad3f, v102, -v49
	v_mul_f32_e32 v101, 0x3f7e222b, v101
	v_fma_f32 v57, 0x3f62ad3f, v72, -v59
	v_fma_f32 v73, 0xbf3f9e67, v114, -v60
	v_add_f32_e32 v58, v58, v146
	v_fmac_f32_e32 v60, 0xbf3f9e67, v114
	v_add_f32_e32 v48, v49, v48
	v_dual_add_f32 v57, v57, v143 :: v_dual_fmac_f32 v144, 0xbf3f9e67, v72
	v_fmac_f32_e32 v59, 0x3f62ad3f, v72
	s_delay_alu instid0(VALU_DEP_2) | instskip(NEXT) | instid1(VALU_DEP_2)
	v_add_f32_e32 v57, v73, v57
	v_dual_fmamk_f32 v73, v116, 0xbf3f9e67, v69 :: v_dual_add_f32 v56, v59, v56
	v_fma_f32 v59, 0x3df6dbef, v104, -v101
	s_delay_alu instid0(VALU_DEP_2) | instskip(NEXT) | instid1(VALU_DEP_3)
	v_dual_add_f32 v58, v73, v58 :: v_dual_mul_f32 v73, 0x3f52af12, v75
	v_add_f32_e32 v49, v60, v56
	v_fma_f32 v56, 0xbf3f9e67, v116, -v69
	s_delay_alu instid0(VALU_DEP_3) | instskip(NEXT) | instid1(VALU_DEP_2)
	v_fma_f32 v75, 0x3f116cb1, v107, -v73
	v_dual_fmac_f32 v73, 0x3f116cb1, v107 :: v_dual_add_f32 v48, v56, v48
	v_fma_f32 v56, 0x3f116cb1, v68, -v63
	s_delay_alu instid0(VALU_DEP_3) | instskip(SKIP_1) | instid1(VALU_DEP_1)
	v_add_f32_e32 v57, v75, v57
	v_fmamk_f32 v75, v68, 0x3f116cb1, v63
	v_dual_add_f32 v49, v73, v49 :: v_dual_add_f32 v58, v75, v58
	v_mul_f32_e32 v75, 0xbf6f5d39, v109
	s_delay_alu instid0(VALU_DEP_1) | instskip(SKIP_1) | instid1(VALU_DEP_2)
	v_fma_f32 v109, 0xbeb58ec6, v120, -v75
	v_fmac_f32_e32 v75, 0xbeb58ec6, v120
	v_add_f32_e32 v57, v109, v57
	v_fmamk_f32 v109, v74, 0xbeb58ec6, v71
	s_delay_alu instid0(VALU_DEP_3) | instskip(SKIP_1) | instid1(VALU_DEP_3)
	v_add_f32_e32 v49, v75, v49
	v_dual_fmac_f32 v151, 0xbf788fa5, v120 :: v_dual_fmac_f32 v158, 0xbf788fa5, v107
	v_dual_add_f32 v58, v109, v58 :: v_dual_mul_f32 v105, 0x3f7e222b, v105
	s_delay_alu instid0(VALU_DEP_2) | instskip(NEXT) | instid1(VALU_DEP_2)
	v_add_f32_e32 v53, v158, v53
	v_fma_f32 v109, 0x3df6dbef, v122, -v105
	s_delay_alu instid0(VALU_DEP_2) | instskip(NEXT) | instid1(VALU_DEP_2)
	v_add_f32_e32 v53, v183, v53
	v_add_f32_e32 v57, v109, v57
	v_fmamk_f32 v109, v104, 0x3df6dbef, v101
	s_delay_alu instid0(VALU_DEP_1) | instskip(SKIP_2) | instid1(VALU_DEP_1)
	v_add_f32_e32 v58, v109, v58
	v_dual_add_f32 v48, v56, v48 :: v_dual_fmac_f32 v105, 0x3df6dbef, v122
	v_fma_f32 v56, 0xbeb58ec6, v74, -v71
	v_add_f32_e32 v56, v56, v48
	s_delay_alu instid0(VALU_DEP_1) | instskip(SKIP_2) | instid1(VALU_DEP_1)
	v_dual_add_f32 v48, v105, v49 :: v_dual_add_f32 v49, v59, v56
	ds_store_2addr_b64 v199, v[57:58], v[48:49] offset0:156 offset1:182
	v_fma_f32 v49, 0xbf3f9e67, v102, -v142
	v_add_f32_e32 v49, v49, v54
	v_fma_f32 v54, 0x3f62ad3f, v116, -v148
	s_delay_alu instid0(VALU_DEP_1) | instskip(SKIP_1) | instid1(VALU_DEP_1)
	v_add_f32_e32 v49, v54, v49
	v_fma_f32 v54, 0x3df6dbef, v68, -v150
	v_add_f32_e32 v49, v54, v49
	v_fma_f32 v54, 0xbf788fa5, v74, -v152
	s_delay_alu instid0(VALU_DEP_1) | instskip(SKIP_1) | instid1(VALU_DEP_1)
	v_add_f32_e32 v49, v54, v49
	v_fma_f32 v54, 0x3f116cb1, v104, -v154
	v_dual_add_f32 v49, v54, v49 :: v_dual_add_f32 v48, v144, v55
	v_fma_f32 v54, 0x3df6dbef, v102, -v156
	v_fma_f32 v55, 0xbeb58ec6, v104, -v186
	s_delay_alu instid0(VALU_DEP_3) | instskip(NEXT) | instid1(VALU_DEP_3)
	v_add_f32_e32 v48, v147, v48
	v_add_f32_e32 v52, v54, v52
	v_fma_f32 v54, 0x3f116cb1, v116, -v157
	s_delay_alu instid0(VALU_DEP_3) | instskip(NEXT) | instid1(VALU_DEP_2)
	v_add_f32_e32 v48, v149, v48
	v_add_f32_e32 v52, v54, v52
	v_fma_f32 v54, 0xbf788fa5, v68, -v182
	s_delay_alu instid0(VALU_DEP_3) | instskip(NEXT) | instid1(VALU_DEP_2)
	;; [unrolled: 4-line block ×3, first 2 shown]
	v_add_f32_e32 v48, v153, v48
	v_add_f32_e32 v54, v54, v52
	v_dual_add_f32 v52, v185, v53 :: v_dual_add_f32 v185, v108, v44
	s_delay_alu instid0(VALU_DEP_2) | instskip(SKIP_2) | instid1(VALU_DEP_1)
	v_dual_add_f32 v53, v55, v54 :: v_dual_add_nc_u32 v44, 0x1c00, v193
	ds_store_2addr_b64 v199, v[52:53], v[48:49] offset0:208 offset1:234
	v_fma_f32 v49, 0xbeb58ec6, v102, -v62
	v_add_f32_e32 v49, v49, v50
	v_fma_f32 v50, 0xbf788fa5, v116, -v125
	s_delay_alu instid0(VALU_DEP_1) | instskip(SKIP_1) | instid1(VALU_DEP_1)
	v_add_f32_e32 v49, v50, v49
	v_fma_f32 v50, 0xbf3f9e67, v68, -v127
	v_dual_fmac_f32 v126, 0xbf3f9e67, v107 :: v_dual_add_f32 v49, v50, v49
	v_fma_f32 v50, 0x3df6dbef, v74, -v129
	s_delay_alu instid0(VALU_DEP_1) | instskip(SKIP_1) | instid1(VALU_DEP_1)
	v_dual_fmac_f32 v128, 0x3df6dbef, v120 :: v_dual_add_f32 v49, v50, v49
	v_fma_f32 v50, 0x3f62ad3f, v104, -v131
	v_add_f32_e32 v184, v50, v49
	v_add_f32_e32 v48, v61, v51
	v_fma_f32 v49, 0xbf3f9e67, v104, -v141
	s_delay_alu instid0(VALU_DEP_2) | instskip(NEXT) | instid1(VALU_DEP_1)
	v_add_f32_e32 v48, v124, v48
	v_add_f32_e32 v48, v126, v48
	s_delay_alu instid0(VALU_DEP_1) | instskip(NEXT) | instid1(VALU_DEP_1)
	v_add_f32_e32 v48, v128, v48
	v_add_f32_e32 v183, v130, v48
	v_fma_f32 v48, 0xbf788fa5, v102, -v133
	s_delay_alu instid0(VALU_DEP_1) | instskip(SKIP_1) | instid1(VALU_DEP_1)
	v_add_f32_e32 v46, v48, v46
	v_fma_f32 v48, 0xbeb58ec6, v116, -v135
	v_add_f32_e32 v46, v48, v46
	v_fma_f32 v48, 0x3f62ad3f, v68, -v137
	s_delay_alu instid0(VALU_DEP_1) | instskip(SKIP_1) | instid1(VALU_DEP_1)
	v_add_f32_e32 v46, v48, v46
	v_fma_f32 v48, 0x3f116cb1, v74, -v139
	v_add_f32_e32 v48, v48, v46
	s_delay_alu instid0(VALU_DEP_1) | instskip(SKIP_3) | instid1(VALU_DEP_1)
	v_dual_add_f32 v46, v140, v47 :: v_dual_add_f32 v47, v49, v48
	v_add_nc_u32_e32 v48, 0x800, v199
	ds_store_2addr_b64 v48, v[46:47], v[183:184] offset0:4 offset1:30
	v_fma_f32 v46, 0x3f116cb1, v102, -v106
	v_add_f32_e32 v45, v46, v45
	v_fma_f32 v46, 0x3df6dbef, v116, -v118
	s_delay_alu instid0(VALU_DEP_1) | instskip(SKIP_1) | instid1(VALU_DEP_1)
	v_add_f32_e32 v45, v46, v45
	v_fma_f32 v46, 0xbeb58ec6, v68, -v119
	v_add_f32_e32 v45, v46, v45
	v_fma_f32 v46, 0xbf3f9e67, v74, -v121
	s_delay_alu instid0(VALU_DEP_1) | instskip(SKIP_1) | instid1(VALU_DEP_1)
	v_add_f32_e32 v45, v46, v45
	v_fma_f32 v46, 0xbf788fa5, v104, -v123
	v_add_f32_e32 v186, v46, v45
	ds_store_b64 v199, v[185:186] offset:2496
	global_wb scope:SCOPE_SE
	s_wait_dscnt 0x0
	s_barrier_signal -1
	s_barrier_wait -1
	global_inv scope:SCOPE_SE
	ds_load_2addr_b64 v[56:59], v44 offset0:118 offset1:170
	ds_load_2addr_b64 v[124:127], v112 offset0:82 offset1:134
	;; [unrolled: 1-line block ×10, first 2 shown]
	ds_load_2addr_b64 v[104:107], v193 offset1:52
	ds_load_2addr_b64 v[100:103], v193 offset0:104 offset1:156
	s_and_saveexec_b32 s0, s2
	s_wait_alu 0xfffe
	s_xor_b32 s0, exec_lo, s0
	s_wait_alu 0xfffe
	s_or_saveexec_b32 s0, s0
	v_add_co_u32 v187, s1, s8, v193
	s_wait_alu 0xf1ff
	v_add_co_ci_u32_e64 v188, null, s9, 0, s1
	v_add_nc_u32_e32 v204, 0x138, v159
                                        ; implicit-def: $vgpr189
                                        ; implicit-def: $vgpr191
	s_wait_alu 0xfffe
	s_xor_b32 exec_lo, exec_lo, s0
	s_cbranch_execz .LBB0_3
; %bb.2:
	ds_load_b64 v[183:184], v193 offset:2496
	ds_load_b64 v[185:186], v193 offset:5200
	;; [unrolled: 1-line block ×4, first 2 shown]
	v_mov_b32_e32 v203, v204
.LBB0_3:
	s_or_b32 exec_lo, exec_lo, s0
	v_mad_co_u64_u32 v[128:129], null, v159, 24, s[10:11]
	v_add_nc_u32_e32 v167, 0x400, v193
	s_clause 0x1
	global_load_b64 v[181:182], v[128:129], off offset:2704
	global_load_b128 v[48:51], v[128:129], off offset:2688
	s_wait_loadcnt_dscnt 0xa
	v_dual_mul_f32 v139, v56, v182 :: v_dual_mul_f32 v44, v125, v49
	s_wait_dscnt 0x7
	v_mul_f32_e32 v135, v60, v51
	v_mul_f32_e32 v131, v124, v49
	s_delay_alu instid0(VALU_DEP_3) | instskip(SKIP_1) | instid1(VALU_DEP_3)
	v_fmac_f32_e32 v139, v57, v181
	v_fma_f32 v130, v124, v48, -v44
	v_fmac_f32_e32 v131, v125, v48
	s_clause 0x1
	global_load_b64 v[124:125], v[128:129], off offset:3952
	global_load_b128 v[44:47], v[128:129], off offset:3936
	s_wait_loadcnt 0x0
	v_dual_fmac_f32 v135, v61, v50 :: v_dual_mul_f32 v132, v127, v45
	v_mul_f32_e32 v133, v126, v45
	v_mul_f32_e32 v137, v62, v47
	s_delay_alu instid0(VALU_DEP_3) | instskip(NEXT) | instid1(VALU_DEP_2)
	v_fma_f32 v132, v126, v44, -v132
	v_dual_mul_f32 v126, v61, v51 :: v_dual_fmac_f32 v137, v63, v46
	s_delay_alu instid0(VALU_DEP_1) | instskip(SKIP_2) | instid1(VALU_DEP_2)
	v_fma_f32 v134, v60, v50, -v126
	v_mul_f32_e32 v60, v63, v47
	v_fmac_f32_e32 v133, v127, v44
	v_fma_f32 v136, v62, v46, -v60
	v_mul_f32_e32 v60, v57, v182
	s_delay_alu instid0(VALU_DEP_1)
	v_fma_f32 v138, v56, v181, -v60
	s_clause 0x1
	global_load_b64 v[126:127], v[128:129], off offset:5200
	global_load_b128 v[60:63], v[128:129], off offset:5184
	v_mul_f32_e32 v56, v59, v125
	v_mul_f32_e32 v141, v58, v125
	s_delay_alu instid0(VALU_DEP_2) | instskip(NEXT) | instid1(VALU_DEP_2)
	v_fma_f32 v140, v58, v124, -v56
	v_fmac_f32_e32 v141, v59, v124
	s_wait_loadcnt_dscnt 0x3
	v_dual_mul_f32 v151, v52, v127 :: v_dual_mul_f32 v56, v121, v61
	v_mul_f32_e32 v143, v120, v61
	v_mul_f32_e32 v147, v68, v63
	s_delay_alu instid0(VALU_DEP_3) | instskip(NEXT) | instid1(VALU_DEP_4)
	v_fmac_f32_e32 v151, v53, v126
	v_fma_f32 v142, v120, v60, -v56
	s_delay_alu instid0(VALU_DEP_4)
	v_fmac_f32_e32 v143, v121, v60
	s_clause 0x1
	global_load_b64 v[120:121], v[128:129], off offset:6448
	global_load_b128 v[56:59], v[128:129], off offset:6432
	v_fmac_f32_e32 v147, v69, v62
	s_wait_loadcnt 0x1
	v_mul_f32_e32 v153, v54, v121
	s_wait_loadcnt 0x0
	v_mul_f32_e32 v144, v123, v57
	v_mul_f32_e32 v145, v122, v57
	;; [unrolled: 1-line block ×3, first 2 shown]
	v_fmac_f32_e32 v153, v55, v120
	s_delay_alu instid0(VALU_DEP_4) | instskip(NEXT) | instid1(VALU_DEP_4)
	v_fma_f32 v144, v122, v56, -v144
	v_dual_mul_f32 v122, v69, v63 :: v_dual_fmac_f32 v145, v123, v56
	s_delay_alu instid0(VALU_DEP_4) | instskip(NEXT) | instid1(VALU_DEP_2)
	v_fmac_f32_e32 v149, v71, v58
	v_fma_f32 v146, v68, v62, -v122
	v_mul_f32_e32 v68, v71, v59
	s_delay_alu instid0(VALU_DEP_1) | instskip(SKIP_1) | instid1(VALU_DEP_1)
	v_fma_f32 v148, v70, v58, -v68
	v_mul_f32_e32 v68, v53, v127
	v_fma_f32 v150, v52, v126, -v68
	s_clause 0x1
	global_load_b64 v[122:123], v[128:129], off offset:7696
	global_load_b128 v[68:71], v[128:129], off offset:7680
	v_mul_f32_e32 v52, v55, v121
	s_delay_alu instid0(VALU_DEP_1) | instskip(SKIP_3) | instid1(VALU_DEP_2)
	v_fma_f32 v152, v54, v120, -v52
	s_wait_loadcnt_dscnt 0x2
	v_dual_mul_f32 v157, v108, v123 :: v_dual_mul_f32 v52, v117, v69
	v_mul_f32_e32 v155, v116, v69
	v_fmac_f32_e32 v157, v109, v122
	s_delay_alu instid0(VALU_DEP_3) | instskip(NEXT) | instid1(VALU_DEP_3)
	v_fma_f32 v154, v116, v68, -v52
	v_fmac_f32_e32 v155, v117, v68
	s_clause 0x1
	global_load_b64 v[116:117], v[128:129], off offset:8944
	global_load_b128 v[52:55], v[128:129], off offset:8928
	v_mul_f32_e32 v129, v112, v71
	s_wait_loadcnt 0x1
	s_delay_alu instid0(VALU_DEP_1) | instskip(SKIP_2) | instid1(VALU_DEP_2)
	v_dual_fmac_f32 v129, v113, v70 :: v_dual_mul_f32 v194, v110, v117
	s_wait_loadcnt 0x0
	v_mul_f32_e32 v128, v119, v53
	v_fmac_f32_e32 v194, v111, v116
	s_delay_alu instid0(VALU_DEP_2) | instskip(SKIP_1) | instid1(VALU_DEP_1)
	v_fma_f32 v128, v118, v52, -v128
	v_mul_f32_e32 v118, v118, v53
	v_dual_fmac_f32 v118, v119, v52 :: v_dual_mul_f32 v119, v113, v71
	s_delay_alu instid0(VALU_DEP_1) | instskip(SKIP_1) | instid1(VALU_DEP_1)
	v_fma_f32 v119, v112, v70, -v119
	v_mul_f32_e32 v112, v115, v55
	v_fma_f32 v156, v114, v54, -v112
	v_mul_f32_e32 v114, v114, v55
	v_mul_f32_e32 v112, v109, v123
	s_delay_alu instid0(VALU_DEP_2) | instskip(NEXT) | instid1(VALU_DEP_2)
	v_fmac_f32_e32 v114, v115, v54
	v_fma_f32 v115, v108, v122, -v112
	v_mul_f32_e32 v108, v111, v117
	s_wait_dscnt 0x1
	v_sub_f32_e32 v111, v107, v137
	v_sub_f32_e32 v114, v75, v114
	s_delay_alu instid0(VALU_DEP_3) | instskip(SKIP_2) | instid1(VALU_DEP_2)
	v_fma_f32 v158, v110, v116, -v108
	v_sub_f32_e32 v108, v104, v134
	v_sub_f32_e32 v110, v106, v136
	v_fma_f32 v112, v104, 2.0, -v108
	v_sub_f32_e32 v104, v130, v138
	s_delay_alu instid0(VALU_DEP_3) | instskip(SKIP_1) | instid1(VALU_DEP_3)
	v_fma_f32 v134, v106, 2.0, -v110
	v_sub_f32_e32 v106, v131, v139
	v_fma_f32 v130, v130, 2.0, -v104
	v_sub_f32_e32 v109, v105, v135
	s_delay_alu instid0(VALU_DEP_3) | instskip(NEXT) | instid1(VALU_DEP_2)
	v_fma_f32 v131, v131, 2.0, -v106
	v_fma_f32 v113, v105, 2.0, -v109
	v_dual_add_f32 v105, v109, v104 :: v_dual_sub_f32 v104, v108, v106
	s_delay_alu instid0(VALU_DEP_1)
	v_fma_f32 v106, v108, 2.0, -v104
	v_sub_f32_e32 v108, v112, v130
	s_wait_dscnt 0x0
	v_sub_f32_e32 v130, v100, v146
	v_fma_f32 v135, v107, 2.0, -v111
	v_fma_f32 v107, v109, 2.0, -v105
	ds_store_b64 v193, v[106:107] offset:2704
	ds_store_b64 v193, v[104:105] offset:8112
	v_fma_f32 v104, v112, 2.0, -v108
	v_sub_f32_e32 v112, v132, v140
	s_delay_alu instid0(VALU_DEP_1) | instskip(SKIP_2) | instid1(VALU_DEP_3)
	v_fma_f32 v106, v132, 2.0, -v112
	v_sub_f32_e32 v132, v143, v151
	v_sub_f32_e32 v109, v113, v131
	v_dual_sub_f32 v131, v101, v147 :: v_dual_sub_f32 v106, v134, v106
	s_delay_alu instid0(VALU_DEP_2)
	v_fma_f32 v105, v113, 2.0, -v109
	v_sub_f32_e32 v113, v133, v141
	ds_store_b64 v193, v[108:109] offset:5408
	v_fma_f32 v108, v134, 2.0, -v106
	v_fma_f32 v107, v133, 2.0, -v113
	v_sub_f32_e32 v133, v142, v150
	s_delay_alu instid0(VALU_DEP_2) | instskip(NEXT) | instid1(VALU_DEP_1)
	v_sub_f32_e32 v107, v135, v107
	v_fma_f32 v109, v135, 2.0, -v107
	ds_store_2addr_b64 v193, v[104:105], v[108:109] offset1:52
	ds_store_b64 v193, v[106:107] offset:5824
	v_add_nc_u32_e32 v106, 0x2000, v193
	v_dual_sub_f32 v104, v110, v113 :: v_dual_add_f32 v105, v111, v112
	v_add_nc_u32_e32 v107, 0x800, v193
	s_delay_alu instid0(VALU_DEP_2) | instskip(NEXT) | instid1(VALU_DEP_3)
	v_fma_f32 v108, v110, 2.0, -v104
	v_fma_f32 v109, v111, 2.0, -v105
	v_dual_sub_f32 v110, v130, v132 :: v_dual_add_f32 v111, v131, v133
	s_delay_alu instid0(VALU_DEP_1) | instskip(SKIP_4) | instid1(VALU_DEP_2)
	v_fma_f32 v112, v130, 2.0, -v110
	ds_store_2addr_b64 v106, v[104:105], v[110:111] offset0:42 offset1:94
	v_fma_f32 v104, v100, 2.0, -v130
	v_fma_f32 v100, v142, 2.0, -v133
	v_sub_f32_e32 v110, v102, v148
	v_sub_f32_e32 v100, v104, v100
	v_fma_f32 v113, v131, 2.0, -v111
	v_sub_f32_e32 v111, v103, v149
	v_fma_f32 v105, v101, 2.0, -v131
	v_fma_f32 v101, v143, 2.0, -v132
	;; [unrolled: 1-line block ×3, first 2 shown]
	ds_store_2addr_b64 v107, v[108:109], v[112:113] offset0:134 offset1:186
	v_dual_sub_f32 v112, v144, v152 :: v_dual_sub_f32 v113, v145, v153
	v_fma_f32 v108, v102, 2.0, -v110
	v_fma_f32 v109, v103, 2.0, -v111
	v_sub_f32_e32 v101, v105, v101
	s_delay_alu instid0(VALU_DEP_4) | instskip(SKIP_1) | instid1(VALU_DEP_3)
	v_fma_f32 v102, v144, 2.0, -v112
	v_fma_f32 v103, v145, 2.0, -v113
	;; [unrolled: 1-line block ×3, first 2 shown]
	s_delay_alu instid0(VALU_DEP_2) | instskip(NEXT) | instid1(VALU_DEP_1)
	v_dual_sub_f32 v102, v108, v102 :: v_dual_sub_f32 v103, v109, v103
	v_fma_f32 v108, v108, 2.0, -v102
	s_delay_alu instid0(VALU_DEP_2)
	v_fma_f32 v109, v109, 2.0, -v103
	ds_store_2addr_b64 v193, v[104:105], v[108:109] offset0:104 offset1:156
	v_dual_sub_f32 v109, v72, v119 :: v_dual_add_nc_u32 v108, 0x1800, v193
	v_add_nc_u32_e32 v119, 0x1d40, v202
	ds_store_2addr_b64 v108, v[100:101], v[102:103] offset0:12 offset1:64
	v_dual_sub_f32 v100, v110, v113 :: v_dual_add_f32 v101, v111, v112
	v_dual_sub_f32 v112, v155, v157 :: v_dual_sub_f32 v113, v154, v115
	v_sub_f32_e32 v115, v74, v156
	s_delay_alu instid0(VALU_DEP_3)
	v_fma_f32 v102, v110, 2.0, -v100
	v_sub_f32_e32 v110, v73, v129
	v_fma_f32 v103, v111, 2.0, -v101
	ds_store_b64 v193, v[100:101] offset:9360
	v_dual_sub_f32 v100, v109, v112 :: v_dual_add_nc_u32 v111, 0xc00, v193
	v_add_f32_e32 v101, v110, v113
	s_delay_alu instid0(VALU_DEP_2) | instskip(NEXT) | instid1(VALU_DEP_2)
	v_fma_f32 v104, v109, 2.0, -v100
	v_fma_f32 v105, v110, 2.0, -v101
	ds_store_2addr_b64 v111, v[102:103], v[104:105] offset0:110 offset1:162
	v_fma_f32 v102, v72, 2.0, -v109
	v_fma_f32 v103, v73, 2.0, -v110
	v_sub_f32_e32 v109, v128, v158
	v_sub_f32_e32 v110, v118, v194
	v_fma_f32 v104, v74, 2.0, -v115
	v_fma_f32 v105, v75, 2.0, -v114
	;; [unrolled: 1-line block ×6, first 2 shown]
	v_add_nc_u32_e32 v118, 0x2080, v202
	s_delay_alu instid0(VALU_DEP_4) | instskip(NEXT) | instid1(VALU_DEP_3)
	v_dual_sub_f32 v72, v102, v72 :: v_dual_sub_f32 v73, v103, v73
	v_dual_sub_f32 v74, v104, v74 :: v_dual_sub_f32 v75, v105, v75
	s_delay_alu instid0(VALU_DEP_2) | instskip(NEXT) | instid1(VALU_DEP_3)
	v_fma_f32 v102, v102, 2.0, -v72
	v_fma_f32 v103, v103, 2.0, -v73
	s_delay_alu instid0(VALU_DEP_3) | instskip(NEXT) | instid1(VALU_DEP_4)
	v_fma_f32 v104, v104, 2.0, -v74
	v_fma_f32 v105, v105, 2.0, -v75
	ds_store_2addr_b64 v167, v[102:103], v[104:105] offset0:80 offset1:132
	ds_store_2addr_b64 v108, v[72:73], v[74:75] offset0:116 offset1:168
	v_dual_sub_f32 v72, v115, v110 :: v_dual_add_f32 v73, v114, v109
	s_delay_alu instid0(VALU_DEP_1) | instskip(SKIP_4) | instid1(VALU_DEP_3)
	v_fma_f32 v102, v115, 2.0, -v72
	ds_store_2addr_b64 v106, v[100:101], v[72:73] offset0:198 offset1:250
	v_mul_i32_i24_e32 v72, 24, v203
	v_fma_f32 v103, v114, 2.0, -v73
	v_mul_hi_i32_i24_e32 v73, 24, v203
	v_add_co_u32 v72, s0, s10, v72
	s_wait_alu 0xf1ff
	s_delay_alu instid0(VALU_DEP_2)
	v_add_co_ci_u32_e64 v73, s0, s11, v73, s0
	s_clause 0x1
	global_load_b64 v[100:101], v[72:73], off offset:2704
	global_load_b128 v[72:75], v[72:73], off offset:2688
	ds_store_b64 v193, v[102:103] offset:4784
	s_wait_loadcnt 0x1
	v_mul_f32_e32 v112, v190, v101
	s_wait_loadcnt 0x0
	v_dual_mul_f32 v104, v186, v73 :: v_dual_mul_f32 v109, v192, v75
	v_dual_mul_f32 v110, v191, v75 :: v_dual_mul_f32 v115, v189, v101
	s_delay_alu instid0(VALU_DEP_3) | instskip(NEXT) | instid1(VALU_DEP_3)
	v_fma_f32 v114, v189, v100, -v112
	v_fma_f32 v104, v185, v72, -v104
	s_delay_alu instid0(VALU_DEP_4) | instskip(NEXT) | instid1(VALU_DEP_4)
	v_fma_f32 v109, v191, v74, -v109
	v_fmac_f32_e32 v110, v192, v74
	v_add_nc_u32_e32 v191, 0x680, v202
	v_add_nc_u32_e32 v189, 0xd00, v202
	v_sub_f32_e32 v103, v104, v114
	v_dual_sub_f32 v109, v183, v109 :: v_dual_add_nc_u32 v114, 0x2700, v202
	v_sub_f32_e32 v112, v184, v110
	s_delay_alu instid0(VALU_DEP_3) | instskip(NEXT) | instid1(VALU_DEP_3)
	v_fma_f32 v104, v104, 2.0, -v103
	v_fma_f32 v110, v183, 2.0, -v109
	v_mul_f32_e32 v105, v185, v73
	s_delay_alu instid0(VALU_DEP_4) | instskip(SKIP_1) | instid1(VALU_DEP_4)
	v_fma_f32 v113, v184, 2.0, -v112
	v_dual_fmac_f32 v115, v190, v100 :: v_dual_add_nc_u32 v184, 0x16c0, v202
	v_sub_f32_e32 v104, v110, v104
	s_delay_alu instid0(VALU_DEP_4) | instskip(SKIP_3) | instid1(VALU_DEP_4)
	v_dual_fmac_f32 v105, v186, v72 :: v_dual_add_nc_u32 v190, 0x9c0, v202
	v_add_f32_e32 v103, v112, v103
	v_lshlrev_b32_e32 v185, 4, v204
	v_add_nc_u32_e32 v186, 0x1040, v202
	v_dual_sub_f32 v102, v105, v115 :: v_dual_add_nc_u32 v183, 0x1a00, v202
	v_add_nc_u32_e32 v115, 0x23c0, v202
	s_delay_alu instid0(VALU_DEP_2) | instskip(SKIP_1) | instid1(VALU_DEP_2)
	v_fma_f32 v105, v105, 2.0, -v102
	v_sub_f32_e32 v102, v109, v102
	v_sub_f32_e32 v105, v113, v105
	s_and_saveexec_b32 s0, vcc_lo
	s_cbranch_execz .LBB0_5
; %bb.4:
	v_fma_f32 v129, v112, 2.0, -v103
	s_delay_alu instid0(VALU_DEP_2)
	v_fma_f32 v113, v113, 2.0, -v105
	v_fma_f32 v112, v110, 2.0, -v104
	;; [unrolled: 1-line block ×3, first 2 shown]
	ds_store_b64 v193, v[112:113] offset:2496
	ds_store_b64 v193, v[128:129] offset:5200
	;; [unrolled: 1-line block ×4, first 2 shown]
.LBB0_5:
	s_wait_alu 0xfffe
	s_or_b32 exec_lo, exec_lo, s0
	global_wb scope:SCOPE_SE
	s_wait_dscnt 0x0
	s_barrier_signal -1
	s_barrier_wait -1
	global_inv scope:SCOPE_SE
	global_load_b64 v[109:110], v[187:188], off offset:10816
	v_lshlrev_b32_e32 v138, 3, v159
	s_add_nc_u64 s[0:1], s[8:9], 0x2a40
	scratch_store_b32 off, v159, off offset:8 ; 4-byte Folded Spill
	s_clause 0x2
	global_load_b64 v[112:113], v138, s[0:1] offset:416
	global_load_b64 v[132:133], v138, s[0:1] offset:832
	;; [unrolled: 1-line block ×3, first 2 shown]
	ds_load_2addr_b64 v[128:131], v193 offset1:52
	s_wait_loadcnt_dscnt 0x300
	v_mul_f32_e32 v137, v128, v110
	v_mul_f32_e32 v136, v129, v110
	s_wait_loadcnt 0x2
	v_mul_f32_e32 v188, v130, v113
	s_delay_alu instid0(VALU_DEP_3) | instskip(NEXT) | instid1(VALU_DEP_3)
	v_fmac_f32_e32 v137, v129, v109
	v_fma_f32 v136, v128, v109, -v136
	v_mul_f32_e32 v109, v131, v113
	s_delay_alu instid0(VALU_DEP_4)
	v_fmac_f32_e32 v188, v131, v112
	ds_store_b64 v193, v[136:137]
	v_fma_f32 v187, v130, v112, -v109
	s_clause 0x2
	global_load_b64 v[109:110], v138, s[0:1] offset:5824
	global_load_b64 v[136:137], v138, s[0:1] offset:6240
	;; [unrolled: 1-line block ×3, first 2 shown]
	v_add_nc_u32_e32 v112, 0x1400, v193
	ds_load_2addr_b64 v[128:131], v112 offset0:88 offset1:140
	s_wait_loadcnt_dscnt 0x200
	v_mul_f32_e32 v203, v128, v110
	v_mul_f32_e32 v113, v129, v110
	s_wait_loadcnt 0x1
	v_mul_f32_e32 v205, v130, v137
	s_delay_alu instid0(VALU_DEP_3) | instskip(NEXT) | instid1(VALU_DEP_3)
	v_fmac_f32_e32 v203, v129, v109
	v_fma_f32 v202, v128, v109, -v113
	v_mul_f32_e32 v109, v131, v137
	s_delay_alu instid0(VALU_DEP_4) | instskip(NEXT) | instid1(VALU_DEP_2)
	v_fmac_f32_e32 v205, v131, v136
	v_fma_f32 v204, v130, v136, -v109
	ds_load_2addr_b64 v[128:131], v193 offset0:104 offset1:156
	s_wait_dscnt 0x0
	v_mul_f32_e32 v109, v129, v133
	v_mul_f32_e32 v137, v128, v133
	;; [unrolled: 1-line block ×3, first 2 shown]
	s_delay_alu instid0(VALU_DEP_3) | instskip(SKIP_1) | instid1(VALU_DEP_4)
	v_fma_f32 v136, v128, v132, -v109
	v_mul_f32_e32 v109, v131, v135
	v_fmac_f32_e32 v137, v129, v132
	s_delay_alu instid0(VALU_DEP_4) | instskip(NEXT) | instid1(VALU_DEP_3)
	v_fmac_f32_e32 v133, v131, v134
	v_fma_f32 v132, v130, v134, -v109
	s_clause 0x3
	global_load_b64 v[109:110], v138, s[0:1] offset:6656
	global_load_b64 v[134:135], v138, s[0:1] offset:7072
	;; [unrolled: 1-line block ×4, first 2 shown]
	ds_load_2addr_b64 v[128:131], v108 offset0:64 offset1:116
	s_wait_loadcnt_dscnt 0x300
	v_mul_f32_e32 v113, v129, v110
	v_mul_f32_e32 v211, v128, v110
	s_wait_loadcnt 0x2
	v_mul_f32_e32 v213, v130, v135
	s_delay_alu instid0(VALU_DEP_3) | instskip(NEXT) | instid1(VALU_DEP_3)
	v_fma_f32 v210, v128, v109, -v113
	v_fmac_f32_e32 v211, v129, v109
	v_mul_f32_e32 v109, v131, v135
	s_delay_alu instid0(VALU_DEP_4) | instskip(NEXT) | instid1(VALU_DEP_2)
	v_fmac_f32_e32 v213, v131, v134
	v_fma_f32 v212, v130, v134, -v109
	s_clause 0x3
	global_load_b64 v[109:110], v138, s[0:1] offset:1664
	global_load_b64 v[134:135], v138, s[0:1] offset:2080
	;; [unrolled: 1-line block ×4, first 2 shown]
	ds_load_2addr_b64 v[128:131], v167 offset0:80 offset1:132
	s_wait_loadcnt_dscnt 0x300
	v_mul_f32_e32 v113, v129, v110
	v_mul_f32_e32 v219, v128, v110
	s_wait_loadcnt 0x2
	v_mul_f32_e32 v221, v130, v135
	s_delay_alu instid0(VALU_DEP_3) | instskip(NEXT) | instid1(VALU_DEP_3)
	v_fma_f32 v218, v128, v109, -v113
	v_fmac_f32_e32 v219, v129, v109
	v_mul_f32_e32 v109, v131, v135
	s_delay_alu instid0(VALU_DEP_4) | instskip(NEXT) | instid1(VALU_DEP_2)
	v_fmac_f32_e32 v221, v131, v134
	v_fma_f32 v220, v130, v134, -v109
	ds_load_2addr_b64 v[128:131], v108 offset0:168 offset1:220
	s_wait_dscnt 0x0
	v_mul_f32_e32 v109, v129, v207
	v_mul_f32_e32 v135, v128, v207
	;; [unrolled: 1-line block ×3, first 2 shown]
	s_delay_alu instid0(VALU_DEP_3) | instskip(SKIP_1) | instid1(VALU_DEP_4)
	v_fma_f32 v134, v128, v206, -v109
	v_mul_f32_e32 v109, v131, v209
	v_fmac_f32_e32 v135, v129, v206
	s_delay_alu instid0(VALU_DEP_4) | instskip(NEXT) | instid1(VALU_DEP_3)
	v_fmac_f32_e32 v207, v131, v208
	v_fma_f32 v206, v130, v208, -v109
	ds_load_2addr_b64 v[128:131], v107 offset0:56 offset1:108
	s_wait_loadcnt_dscnt 0x100
	v_mul_f32_e32 v109, v129, v215
	v_mul_f32_e32 v209, v128, v215
	s_wait_loadcnt 0x0
	v_mul_f32_e32 v215, v130, v217
	s_delay_alu instid0(VALU_DEP_3) | instskip(SKIP_2) | instid1(VALU_DEP_4)
	v_fma_f32 v208, v128, v214, -v109
	v_mul_f32_e32 v109, v131, v217
	v_fmac_f32_e32 v209, v129, v214
	v_fmac_f32_e32 v215, v131, v216
	s_delay_alu instid0(VALU_DEP_3)
	v_fma_f32 v214, v130, v216, -v109
	s_clause 0x3
	global_load_b64 v[109:110], v138, s[0:1] offset:8320
	global_load_b64 v[216:217], v138, s[0:1] offset:8736
	;; [unrolled: 1-line block ×4, first 2 shown]
	ds_load_2addr_b64 v[128:131], v106 offset0:16 offset1:68
	s_wait_loadcnt_dscnt 0x300
	v_mul_f32_e32 v113, v129, v110
	v_mul_f32_e32 v227, v128, v110
	s_wait_loadcnt 0x2
	v_mul_f32_e32 v229, v130, v217
	s_delay_alu instid0(VALU_DEP_3) | instskip(NEXT) | instid1(VALU_DEP_3)
	v_fma_f32 v226, v128, v109, -v113
	v_fmac_f32_e32 v227, v129, v109
	v_mul_f32_e32 v109, v131, v217
	s_delay_alu instid0(VALU_DEP_4) | instskip(NEXT) | instid1(VALU_DEP_2)
	v_fmac_f32_e32 v229, v131, v216
	v_fma_f32 v228, v130, v216, -v109
	s_clause 0x3
	global_load_b64 v[109:110], v138, s[0:1] offset:3328
	global_load_b64 v[216:217], v138, s[0:1] offset:3744
	;; [unrolled: 1-line block ×4, first 2 shown]
	ds_load_2addr_b64 v[128:131], v107 offset0:160 offset1:212
	s_wait_loadcnt_dscnt 0x300
	v_mul_f32_e32 v113, v129, v110
	v_mul_f32_e32 v235, v128, v110
	s_wait_loadcnt 0x2
	v_mul_f32_e32 v237, v130, v217
	v_add_nc_u32_e32 v110, 0x1000, v193
	v_fma_f32 v234, v128, v109, -v113
	v_fmac_f32_e32 v235, v129, v109
	v_mul_f32_e32 v109, v131, v217
	v_fmac_f32_e32 v237, v131, v216
	v_add_nc_u32_e32 v113, 0x2400, v193
	s_delay_alu instid0(VALU_DEP_3)
	v_fma_f32 v236, v130, v216, -v109
	ds_load_2addr_b64 v[128:131], v106 offset0:120 offset1:172
	s_wait_dscnt 0x0
	v_mul_f32_e32 v109, v129, v223
	v_mul_f32_e32 v217, v128, v223
	;; [unrolled: 1-line block ×3, first 2 shown]
	s_delay_alu instid0(VALU_DEP_3) | instskip(SKIP_1) | instid1(VALU_DEP_4)
	v_fma_f32 v216, v128, v222, -v109
	v_mul_f32_e32 v109, v131, v225
	v_fmac_f32_e32 v217, v129, v222
	s_delay_alu instid0(VALU_DEP_4) | instskip(NEXT) | instid1(VALU_DEP_3)
	v_fmac_f32_e32 v223, v131, v224
	v_fma_f32 v222, v130, v224, -v109
	ds_load_2addr_b64 v[128:131], v110 offset0:8 offset1:60
	s_wait_loadcnt_dscnt 0x100
	v_mul_f32_e32 v109, v129, v231
	v_mul_f32_e32 v225, v128, v231
	s_wait_loadcnt 0x0
	v_mul_f32_e32 v231, v130, v233
	s_delay_alu instid0(VALU_DEP_3) | instskip(SKIP_2) | instid1(VALU_DEP_4)
	v_fma_f32 v224, v128, v230, -v109
	v_mul_f32_e32 v109, v131, v233
	v_fmac_f32_e32 v225, v129, v230
	v_fmac_f32_e32 v231, v131, v232
	s_delay_alu instid0(VALU_DEP_3)
	v_fma_f32 v230, v130, v232, -v109
	global_load_b64 v[232:233], v138, s[0:1] offset:4992
	ds_load_2addr_b64 v[128:131], v110 offset0:112 offset1:164
	s_wait_dscnt 0x0
	v_mul_f32_e32 v109, v131, v195
	v_mul_f32_e32 v239, v130, v195
	s_delay_alu instid0(VALU_DEP_2) | instskip(NEXT) | instid1(VALU_DEP_2)
	v_fma_f32 v238, v130, v194, -v109
	v_fmac_f32_e32 v239, v131, v194
	s_wait_loadcnt 0x0
	v_mul_f32_e32 v109, v129, v233
	v_mul_f32_e32 v195, v128, v233
	s_delay_alu instid0(VALU_DEP_2) | instskip(NEXT) | instid1(VALU_DEP_2)
	v_fma_f32 v194, v128, v232, -v109
	v_fmac_f32_e32 v195, v129, v232
	s_clause 0x1
	global_load_b64 v[232:233], v138, s[0:1] offset:9984
	global_load_b64 v[240:241], v138, s[0:1] offset:10400
	ds_load_2addr_b64 v[128:131], v113 offset0:96 offset1:148
	ds_store_2addr_b64 v111, v[236:237], v[224:225] offset0:84 offset1:136
	ds_store_2addr_b64 v110, v[238:239], v[202:203] offset0:164 offset1:216
	;; [unrolled: 1-line block ×7, first 2 shown]
	s_wait_loadcnt_dscnt 0x107
	v_mul_f32_e32 v109, v129, v233
	v_mul_f32_e32 v243, v128, v233
	s_delay_alu instid0(VALU_DEP_2) | instskip(SKIP_2) | instid1(VALU_DEP_3)
	v_fma_f32 v242, v128, v232, -v109
	s_wait_loadcnt 0x0
	v_mul_f32_e32 v109, v131, v241
	v_fmac_f32_e32 v243, v129, v232
	v_mul_f32_e32 v129, v130, v241
	s_delay_alu instid0(VALU_DEP_3) | instskip(SKIP_1) | instid1(VALU_DEP_3)
	v_fma_f32 v128, v130, v240, -v109
	v_add_nc_u32_e32 v109, 0x1c00, v193
	v_fmac_f32_e32 v129, v131, v240
	ds_store_2addr_b64 v109, v[206:207], v[226:227] offset0:92 offset1:144
	ds_store_2addr_b64 v107, v[214:215], v[234:235] offset0:108 offset1:160
	;; [unrolled: 1-line block ×5, first 2 shown]
	ds_store_b64 v193, v[128:129] offset:10400
	global_wb scope:SCOPE_SE
	s_wait_storecnt_dscnt 0x0
	s_barrier_signal -1
	s_barrier_wait -1
	global_inv scope:SCOPE_SE
	ds_load_2addr_b64 v[128:131], v193 offset1:52
	ds_load_2addr_b64 v[202:205], v110 offset0:112 offset1:164
	ds_load_2addr_b64 v[208:211], v112 offset0:88 offset1:140
	;; [unrolled: 1-line block ×12, first 2 shown]
	global_wb scope:SCOPE_SE
	s_wait_dscnt 0x0
	s_barrier_signal -1
	s_barrier_wait -1
	global_inv scope:SCOPE_SE
	v_sub_f32_e32 v132, v130, v208
	v_dual_sub_f32 v206, v128, v204 :: v_dual_sub_f32 v207, v129, v205
	v_sub_f32_e32 v133, v131, v209
	s_delay_alu instid0(VALU_DEP_3) | instskip(NEXT) | instid1(VALU_DEP_3)
	v_fma_f32 v130, v130, 2.0, -v132
	v_fma_f32 v204, v128, 2.0, -v206
	s_delay_alu instid0(VALU_DEP_4) | instskip(NEXT) | instid1(VALU_DEP_4)
	v_fma_f32 v205, v129, 2.0, -v207
	v_fma_f32 v131, v131, 2.0, -v133
	ds_store_b128 v161, v[204:207]
	ds_store_b128 v160, v[130:133]
	v_dual_sub_f32 v130, v212, v210 :: v_dual_sub_f32 v131, v213, v211
	s_delay_alu instid0(VALU_DEP_1) | instskip(NEXT) | instid1(VALU_DEP_2)
	v_fma_f32 v128, v212, 2.0, -v130
	v_fma_f32 v129, v213, 2.0, -v131
	ds_store_b128 v191, v[128:131]
	v_dual_sub_f32 v130, v214, v216 :: v_dual_sub_f32 v131, v215, v217
	s_delay_alu instid0(VALU_DEP_1) | instskip(NEXT) | instid1(VALU_DEP_2)
	v_fma_f32 v128, v214, 2.0, -v130
	v_fma_f32 v129, v215, 2.0, -v131
	;; [unrolled: 5-line block ×11, first 2 shown]
	ds_store_b128 v114, v[128:131]
	global_wb scope:SCOPE_SE
	s_wait_dscnt 0x0
	s_barrier_signal -1
	s_barrier_wait -1
	global_inv scope:SCOPE_SE
	ds_load_2addr_b64 v[128:131], v193 offset0:104 offset1:156
	ds_load_2addr_b64 v[135:138], v193 offset1:52
	s_wait_dscnt 0x1
	v_mul_f32_e32 v185, v1, v129
	v_mul_f32_e32 v109, v1, v128
	;; [unrolled: 1-line block ×4, first 2 shown]
	s_delay_alu instid0(VALU_DEP_4) | instskip(NEXT) | instid1(VALU_DEP_4)
	v_fmac_f32_e32 v185, v0, v128
	v_fma_f32 v187, v0, v129, -v109
	s_delay_alu instid0(VALU_DEP_4) | instskip(NEXT) | instid1(VALU_DEP_4)
	v_fmac_f32_e32 v186, v0, v130
	v_fma_f32 v0, v0, v131, -v1
	ds_load_2addr_b64 v[128:131], v167 offset0:80 offset1:132
	s_wait_dscnt 0x1
	v_add_f32_e32 v195, v136, v187
	s_wait_dscnt 0x0
	v_mul_f32_e32 v1, v3, v128
	v_mul_f32_e32 v204, v3, v129
	;; [unrolled: 1-line block ×3, first 2 shown]
	s_delay_alu instid0(VALU_DEP_3) | instskip(NEXT) | instid1(VALU_DEP_3)
	v_fma_f32 v209, v2, v129, -v1
	v_dual_mul_f32 v1, v3, v130 :: v_dual_fmac_f32 v204, v2, v128
	s_delay_alu instid0(VALU_DEP_3) | instskip(NEXT) | instid1(VALU_DEP_2)
	v_fmac_f32_e32 v118, v2, v130
	v_fma_f32 v184, v2, v131, -v1
	ds_load_2addr_b64 v[128:131], v107 offset0:56 offset1:108
	s_wait_dscnt 0x0
	v_mul_f32_e32 v1, v5, v128
	v_mul_f32_e32 v203, v5, v129
	;; [unrolled: 1-line block ×3, first 2 shown]
	s_delay_alu instid0(VALU_DEP_3) | instskip(SKIP_1) | instid1(VALU_DEP_4)
	v_fma_f32 v208, v4, v129, -v1
	v_mul_f32_e32 v1, v5, v130
	v_fmac_f32_e32 v203, v4, v128
	s_delay_alu instid0(VALU_DEP_4) | instskip(NEXT) | instid1(VALU_DEP_3)
	v_fmac_f32_e32 v115, v4, v130
	v_fma_f32 v183, v4, v131, -v1
	ds_load_2addr_b64 v[1:4], v107 offset0:160 offset1:212
	ds_load_2addr_b64 v[128:131], v110 offset0:112 offset1:164
	s_wait_dscnt 0x1
	v_mul_f32_e32 v202, v7, v2
	v_mul_f32_e32 v114, v7, v4
	s_delay_alu instid0(VALU_DEP_2) | instskip(NEXT) | instid1(VALU_DEP_2)
	v_fmac_f32_e32 v202, v6, v1
	v_dual_mul_f32 v1, v7, v1 :: v_dual_fmac_f32 v114, v6, v3
	s_delay_alu instid0(VALU_DEP_1) | instskip(SKIP_3) | instid1(VALU_DEP_2)
	v_fma_f32 v207, v6, v2, -v1
	v_mul_f32_e32 v1, v7, v3
	s_wait_dscnt 0x0
	v_mul_f32_e32 v2, v11, v129
	v_fma_f32 v119, v6, v4, -v1
	ds_load_2addr_b64 v[4:7], v110 offset0:8 offset1:60
	v_fmac_f32_e32 v2, v10, v128
	s_wait_dscnt 0x0
	v_mul_f32_e32 v1, v9, v4
	v_mul_f32_e32 v3, v9, v5
	s_delay_alu instid0(VALU_DEP_2) | instskip(SKIP_2) | instid1(VALU_DEP_4)
	v_fma_f32 v206, v8, v5, -v1
	v_mul_f32_e32 v1, v9, v6
	v_mul_f32_e32 v5, v9, v7
	v_dual_fmac_f32 v3, v8, v4 :: v_dual_mul_f32 v4, v11, v131
	s_delay_alu instid0(VALU_DEP_3) | instskip(SKIP_1) | instid1(VALU_DEP_4)
	v_fma_f32 v7, v8, v7, -v1
	v_mul_f32_e32 v1, v11, v128
	v_fmac_f32_e32 v5, v8, v6
	s_delay_alu instid0(VALU_DEP_4) | instskip(NEXT) | instid1(VALU_DEP_3)
	v_fmac_f32_e32 v4, v10, v130
	v_fma_f32 v205, v10, v129, -v1
	v_mul_f32_e32 v1, v11, v130
	s_delay_alu instid0(VALU_DEP_1) | instskip(SKIP_4) | instid1(VALU_DEP_2)
	v_fma_f32 v6, v10, v131, -v1
	ds_load_2addr_b64 v[8:11], v112 offset0:88 offset1:140
	s_wait_dscnt 0x0
	v_mul_f32_e32 v210, v13, v9
	v_mul_f32_e32 v1, v13, v8
	v_fmac_f32_e32 v210, v12, v8
	s_delay_alu instid0(VALU_DEP_2) | instskip(SKIP_2) | instid1(VALU_DEP_2)
	v_fma_f32 v211, v12, v9, -v1
	v_mul_f32_e32 v8, v13, v11
	v_mul_f32_e32 v1, v13, v10
	v_fmac_f32_e32 v8, v12, v10
	s_delay_alu instid0(VALU_DEP_2) | instskip(SKIP_4) | instid1(VALU_DEP_2)
	v_fma_f32 v9, v12, v11, -v1
	ds_load_2addr_b64 v[10:13], v108 offset0:64 offset1:116
	s_wait_dscnt 0x0
	v_mul_f32_e32 v214, v15, v11
	v_mul_f32_e32 v1, v15, v10
	v_fmac_f32_e32 v214, v14, v10
	s_delay_alu instid0(VALU_DEP_2) | instskip(SKIP_2) | instid1(VALU_DEP_2)
	v_fma_f32 v215, v14, v11, -v1
	v_mul_f32_e32 v10, v15, v13
	v_mul_f32_e32 v1, v15, v12
	v_fmac_f32_e32 v10, v14, v12
	s_delay_alu instid0(VALU_DEP_2) | instskip(SKIP_4) | instid1(VALU_DEP_2)
	;; [unrolled: 12-line block ×4, first 2 shown]
	v_fma_f32 v15, v18, v17, -v1
	ds_load_2addr_b64 v[16:19], v106 offset0:120 offset1:172
	s_wait_dscnt 0x0
	v_mul_f32_e32 v224, v21, v17
	v_mul_f32_e32 v1, v21, v16
	v_fmac_f32_e32 v224, v20, v16
	s_delay_alu instid0(VALU_DEP_2) | instskip(SKIP_2) | instid1(VALU_DEP_2)
	v_fma_f32 v225, v20, v17, -v1
	v_mul_f32_e32 v16, v21, v19
	v_mul_f32_e32 v1, v21, v18
	v_dual_sub_f32 v253, v209, v225 :: v_dual_fmac_f32 v16, v20, v18
	s_delay_alu instid0(VALU_DEP_2)
	v_fma_f32 v17, v20, v19, -v1
	ds_load_2addr_b64 v[18:21], v113 offset0:96 offset1:148
	v_add_f32_e32 v251, v209, v225
	v_mul_f32_e32 v159, 0x3f7e222b, v253
	v_sub_f32_e32 v255, v208, v221
	global_wb scope:SCOPE_SE
	s_wait_dscnt 0x0
	s_barrier_signal -1
	s_barrier_wait -1
	global_inv scope:SCOPE_SE
	v_mul_f32_e32 v160, 0x3df6dbef, v251
	v_mul_f32_e32 v1, v23, v19
	s_delay_alu instid0(VALU_DEP_1) | instskip(NEXT) | instid1(VALU_DEP_1)
	v_fmac_f32_e32 v1, v22, v18
	v_dual_mul_f32 v18, v23, v18 :: v_dual_add_f32 v131, v185, v1
	s_delay_alu instid0(VALU_DEP_1) | instskip(SKIP_2) | instid1(VALU_DEP_2)
	v_fma_f32 v226, v22, v19, -v18
	v_mul_f32_e32 v18, v23, v21
	v_mul_f32_e32 v19, v23, v20
	v_fmac_f32_e32 v18, v22, v20
	s_delay_alu instid0(VALU_DEP_4) | instskip(NEXT) | instid1(VALU_DEP_3)
	v_sub_f32_e32 v20, v187, v226
	v_fma_f32 v19, v22, v21, -v19
	s_delay_alu instid0(VALU_DEP_3) | instskip(NEXT) | instid1(VALU_DEP_3)
	v_add_f32_e32 v133, v186, v18
	v_mul_f32_e32 v23, 0xbf52af12, v20
	v_mul_f32_e32 v109, 0xbf7e222b, v20
	;; [unrolled: 1-line block ×5, first 2 shown]
	v_fmamk_f32 v22, v131, 0x3f116cb1, v23
	v_fma_f32 v23, 0x3f116cb1, v131, -v23
	v_fmamk_f32 v188, v131, 0x3df6dbef, v109
	v_fma_f32 v189, 0x3df6dbef, v131, -v109
	v_fma_f32 v191, 0xbeb58ec6, v131, -v128
	v_add_f32_e32 v109, v187, v226
	v_add_f32_e32 v238, v135, v23
	;; [unrolled: 1-line block ×3, first 2 shown]
	v_fmamk_f32 v190, v131, 0xbeb58ec6, v128
	v_add_f32_e32 v242, v135, v191
	v_mul_f32_e32 v228, 0x3f62ad3f, v109
	v_mul_f32_e32 v223, 0x3f116cb1, v109
	;; [unrolled: 1-line block ×6, first 2 shown]
	v_dual_sub_f32 v109, v185, v1 :: v_dual_fmamk_f32 v192, v131, 0xbf3f9e67, v129
	v_fma_f32 v200, 0xbf3f9e67, v131, -v129
	v_fmamk_f32 v201, v131, 0xbf788fa5, v130
	v_fma_f32 v212, 0xbf788fa5, v131, -v130
	s_delay_alu instid0(VALU_DEP_4)
	v_fmamk_f32 v231, v109, 0x3eedf032, v228
	v_fmac_f32_e32 v228, 0xbeedf032, v109
	v_fmamk_f32 v234, v109, 0x3f52af12, v223
	v_fmac_f32_e32 v223, 0xbf52af12, v109
	;; [unrolled: 2-line block ×6, first 2 shown]
	v_sub_f32_e32 v109, v0, v19
	v_dual_add_f32 v254, v136, v231 :: v_dual_mul_f32 v21, 0xbeedf032, v20
	v_add_f32_e32 v194, v135, v185
	s_delay_alu instid0(VALU_DEP_3) | instskip(SKIP_1) | instid1(VALU_DEP_4)
	v_dual_add_f32 v249, v135, v192 :: v_dual_mul_f32 v132, 0xbf29c268, v109
	v_mul_f32_e32 v128, 0xbeedf032, v109
	v_fmamk_f32 v20, v131, 0x3f62ad3f, v21
	v_fma_f32 v21, 0x3f62ad3f, v131, -v21
	v_mul_f32_e32 v131, 0xbf6f5d39, v109
	v_fmamk_f32 v144, v133, 0xbf3f9e67, v132
	v_fma_f32 v145, 0xbf3f9e67, v133, -v132
	v_dual_sub_f32 v132, v186, v18 :: v_dual_mul_f32 v129, 0xbf52af12, v109
	s_delay_alu instid0(VALU_DEP_4)
	v_fmamk_f32 v142, v133, 0xbeb58ec6, v131
	v_fma_f32 v143, 0xbeb58ec6, v133, -v131
	v_dual_add_f32 v131, v0, v19 :: v_dual_mul_f32 v130, 0xbf7e222b, v109
	v_fmamk_f32 v139, v133, 0x3f62ad3f, v128
	v_fma_f32 v128, 0x3f62ad3f, v133, -v128
	v_fmamk_f32 v140, v133, 0x3f116cb1, v129
	s_delay_alu instid0(VALU_DEP_4)
	v_mul_f32_e32 v147, 0x3f62ad3f, v131
	v_mul_f32_e32 v149, 0x3f116cb1, v131
	;; [unrolled: 1-line block ×6, first 2 shown]
	v_fmamk_f32 v148, v132, 0x3eedf032, v147
	v_fmac_f32_e32 v147, 0xbeedf032, v132
	v_fmamk_f32 v150, v132, 0x3f52af12, v149
	v_fmac_f32_e32 v149, 0xbf52af12, v132
	;; [unrolled: 2-line block ×6, first 2 shown]
	v_dual_add_f32 v132, v135, v188 :: v_dual_mul_f32 v109, 0xbe750f2a, v109
	v_fma_f32 v129, 0x3f116cb1, v133, -v129
	v_fmamk_f32 v141, v133, 0x3df6dbef, v130
	v_fma_f32 v130, 0x3df6dbef, v133, -v130
	s_delay_alu instid0(VALU_DEP_4) | instskip(SKIP_3) | instid1(VALU_DEP_3)
	v_dual_add_f32 v131, v136, v233 :: v_dual_fmamk_f32 v146, v133, 0xbf788fa5, v109
	v_fma_f32 v109, 0xbf788fa5, v133, -v109
	v_dual_add_f32 v133, v136, v234 :: v_dual_add_f32 v234, v138, v0
	v_dual_add_f32 v0, v194, v204 :: v_dual_add_f32 v233, v137, v186
	v_add_f32_e32 v192, v137, v109
	v_add_f32_e32 v109, v195, v209
	;; [unrolled: 1-line block ×3, first 2 shown]
	s_delay_alu instid0(VALU_DEP_4) | instskip(SKIP_3) | instid1(VALU_DEP_4)
	v_add_f32_e32 v0, v0, v203
	v_add_f32_e32 v209, v204, v224
	v_sub_f32_e32 v204, v204, v224
	v_add_f32_e32 v109, v109, v208
	v_dual_add_f32 v243, v135, v20 :: v_dual_add_f32 v0, v0, v202
	v_dual_add_f32 v20, v137, v128 :: v_dual_add_f32 v195, v207, v218
	s_delay_alu instid0(VALU_DEP_3) | instskip(NEXT) | instid1(VALU_DEP_3)
	v_dual_add_f32 v109, v109, v207 :: v_dual_add_f32 v236, v135, v189
	v_add_f32_e32 v0, v0, v3
	v_dual_add_f32 v194, v206, v215 :: v_dual_add_f32 v231, v135, v21
	s_delay_alu instid0(VALU_DEP_3) | instskip(SKIP_1) | instid1(VALU_DEP_4)
	v_add_f32_e32 v109, v109, v206
	v_add_f32_e32 v252, v135, v190
	;; [unrolled: 1-line block ×4, first 2 shown]
	s_delay_alu instid0(VALU_DEP_4) | instskip(SKIP_1) | instid1(VALU_DEP_4)
	v_dual_add_f32 v232, v136, v228 :: v_dual_add_f32 v109, v109, v205
	v_add_f32_e32 v250, v136, v230
	v_add_f32_e32 v0, v0, v210
	;; [unrolled: 1-line block ×5, first 2 shown]
	s_delay_alu instid0(VALU_DEP_4) | instskip(SKIP_1) | instid1(VALU_DEP_3)
	v_dual_mul_f32 v143, 0xbe750f2a, v253 :: v_dual_add_f32 v0, v0, v214
	v_dual_add_f32 v235, v136, v222 :: v_dual_add_f32 v228, v137, v140
	v_add_f32_e32 v109, v109, v215
	v_add_f32_e32 v188, v137, v145
	s_delay_alu instid0(VALU_DEP_4) | instskip(SKIP_1) | instid1(VALU_DEP_4)
	v_add_f32_e32 v0, v0, v216
	v_dual_add_f32 v200, v137, v146 :: v_dual_add_f32 v191, v138, v155
	v_add_f32_e32 v109, v109, v218
	s_delay_alu instid0(VALU_DEP_3) | instskip(SKIP_1) | instid1(VALU_DEP_3)
	v_dual_add_f32 v185, v138, v149 :: v_dual_add_f32 v0, v0, v220
	v_add_f32_e32 v222, v138, v152
	v_dual_add_f32 v22, v138, v151 :: v_dual_add_f32 v109, v109, v221
	s_delay_alu instid0(VALU_DEP_3) | instskip(SKIP_1) | instid1(VALU_DEP_3)
	v_dual_add_f32 v187, v138, v154 :: v_dual_add_f32 v0, v0, v224
	v_mul_f32_e32 v224, 0xbf52af12, v253
	v_dual_mul_f32 v152, 0xbf3f9e67, v251 :: v_dual_add_f32 v109, v109, v225
	v_mul_f32_e32 v225, 0x3f116cb1, v251
	v_mul_f32_e32 v140, 0x3df6dbef, v194
	s_delay_alu instid0(VALU_DEP_2) | instskip(NEXT) | instid1(VALU_DEP_1)
	v_fmamk_f32 v128, v204, 0x3f52af12, v225
	v_add_f32_e32 v128, v128, v254
	v_add_f32_e32 v254, v208, v221
	v_dual_add_f32 v0, v0, v1 :: v_dual_add_f32 v1, v109, v226
	v_dual_fmamk_f32 v109, v209, 0x3f116cb1, v224 :: v_dual_add_f32 v208, v203, v220
	v_dual_sub_f32 v203, v203, v220 :: v_dual_mul_f32 v220, 0xbf7e222b, v255
	s_delay_alu instid0(VALU_DEP_4) | instskip(NEXT) | instid1(VALU_DEP_3)
	v_mul_f32_e32 v221, 0x3df6dbef, v254
	v_add_f32_e32 v109, v109, v243
	v_add_f32_e32 v189, v138, v153
	v_mul_f32_e32 v153, 0x3eedf032, v255
	v_fmamk_f32 v129, v208, 0x3df6dbef, v220
	v_add_f32_e32 v23, v137, v130
	v_mul_f32_e32 v226, 0xbf3f9e67, v194
	s_delay_alu instid0(VALU_DEP_3) | instskip(SKIP_1) | instid1(VALU_DEP_1)
	v_dual_mul_f32 v154, 0x3f62ad3f, v254 :: v_dual_add_f32 v109, v129, v109
	v_fmamk_f32 v129, v203, 0x3f7e222b, v221
	v_dual_add_f32 v129, v129, v128 :: v_dual_sub_f32 v128, v207, v218
	v_add_f32_e32 v207, v202, v216
	v_sub_f32_e32 v202, v202, v216
	v_dual_mul_f32 v218, 0xbeb58ec6, v195 :: v_dual_add_f32 v247, v135, v201
	s_delay_alu instid0(VALU_DEP_4) | instskip(SKIP_1) | instid1(VALU_DEP_2)
	v_mul_f32_e32 v216, 0xbf6f5d39, v128
	v_mul_f32_e32 v155, 0xbf7e222b, v128
	v_dual_add_f32 v213, v137, v144 :: v_dual_fmamk_f32 v130, v207, 0xbeb58ec6, v216
	s_delay_alu instid0(VALU_DEP_1) | instskip(SKIP_1) | instid1(VALU_DEP_1)
	v_add_f32_e32 v130, v130, v109
	v_fmamk_f32 v109, v202, 0x3f6f5d39, v218
	v_dual_fmac_f32 v218, 0xbf6f5d39, v202 :: v_dual_add_f32 v129, v109, v129
	v_dual_sub_f32 v109, v206, v215 :: v_dual_add_f32 v206, v3, v214
	v_sub_f32_e32 v214, v3, v214
	v_dual_add_f32 v245, v135, v212 :: v_dual_add_f32 v212, v138, v157
	s_delay_alu instid0(VALU_DEP_3) | instskip(SKIP_1) | instid1(VALU_DEP_2)
	v_mul_f32_e32 v215, 0xbf29c268, v109
	v_mul_f32_e32 v157, 0x3e750f2a, v109
	v_fmamk_f32 v3, v206, 0xbf3f9e67, v215
	s_delay_alu instid0(VALU_DEP_1) | instskip(SKIP_1) | instid1(VALU_DEP_2)
	v_dual_add_f32 v3, v3, v130 :: v_dual_fmamk_f32 v130, v214, 0x3f29c268, v226
	v_dual_add_f32 v248, v136, v229 :: v_dual_add_f32 v229, v138, v148
	v_dual_fmac_f32 v226, 0xbf29c268, v214 :: v_dual_add_f32 v135, v130, v129
	v_sub_f32_e32 v130, v205, v211
	v_add_f32_e32 v129, v205, v211
	v_add_f32_e32 v205, v2, v210
	v_dual_sub_f32 v210, v2, v210 :: v_dual_add_f32 v237, v136, v223
	s_delay_alu instid0(VALU_DEP_4) | instskip(NEXT) | instid1(VALU_DEP_4)
	v_mul_f32_e32 v211, 0xbe750f2a, v130
	v_mul_f32_e32 v243, 0xbf788fa5, v129
	v_add_f32_e32 v223, v137, v141
	v_add_f32_e32 v21, v138, v147
	s_delay_alu instid0(VALU_DEP_4) | instskip(SKIP_2) | instid1(VALU_DEP_3)
	v_dual_add_f32 v201, v138, v158 :: v_dual_fmamk_f32 v2, v205, 0xbf788fa5, v211
	v_mul_f32_e32 v141, 0x3eedf032, v130
	v_mul_f32_e32 v158, 0xbf788fa5, v194
	v_add_f32_e32 v2, v2, v3
	v_fmamk_f32 v3, v210, 0x3e750f2a, v243
	v_add_f32_e32 v241, v136, v219
	v_dual_add_f32 v219, v137, v142 :: v_dual_mul_f32 v142, 0x3f62ad3f, v129
	v_add_f32_e32 v230, v137, v139
	s_delay_alu instid0(VALU_DEP_4)
	v_add_f32_e32 v3, v3, v135
	v_mul_f32_e32 v135, 0xbf6f5d39, v253
	v_mul_f32_e32 v137, 0x3f29c268, v128
	;; [unrolled: 1-line block ×3, first 2 shown]
	ds_store_2addr_b64 v196, v[0:1], v[2:3] offset1:2
	v_fmamk_f32 v0, v209, 0xbeb58ec6, v135
	s_delay_alu instid0(VALU_DEP_1) | instskip(SKIP_2) | instid1(VALU_DEP_2)
	v_add_f32_e32 v0, v0, v134
	v_dual_mul_f32 v134, 0xbeb58ec6, v251 :: v_dual_add_f32 v239, v136, v217
	v_dual_add_f32 v217, v138, v156 :: v_dual_mul_f32 v156, 0x3df6dbef, v195
	v_fmamk_f32 v1, v204, 0x3f6f5d39, v134
	s_delay_alu instid0(VALU_DEP_1) | instskip(SKIP_1) | instid1(VALU_DEP_1)
	v_dual_fmac_f32 v134, 0xbf6f5d39, v204 :: v_dual_add_f32 v1, v1, v133
	v_mul_f32_e32 v133, 0xbe750f2a, v255
	v_fmamk_f32 v2, v208, 0xbf788fa5, v133
	s_delay_alu instid0(VALU_DEP_1) | instskip(SKIP_3) | instid1(VALU_DEP_2)
	v_add_f32_e32 v0, v2, v0
	v_add_f32_e32 v246, v136, v227
	v_mul_f32_e32 v136, 0xbf788fa5, v254
	v_dual_add_f32 v227, v138, v150 :: v_dual_mul_f32 v138, 0xbf3f9e67, v195
	v_fmamk_f32 v2, v203, 0x3e750f2a, v136
	s_delay_alu instid0(VALU_DEP_1) | instskip(NEXT) | instid1(VALU_DEP_1)
	v_dual_add_f32 v1, v2, v1 :: v_dual_fmamk_f32 v2, v207, 0xbf3f9e67, v137
	v_add_f32_e32 v0, v2, v0
	s_delay_alu instid0(VALU_DEP_4) | instskip(NEXT) | instid1(VALU_DEP_1)
	v_fmamk_f32 v2, v202, 0xbf29c268, v138
	v_dual_fmac_f32 v138, 0x3f29c268, v202 :: v_dual_add_f32 v1, v2, v1
	v_fmamk_f32 v2, v206, 0x3df6dbef, v139
	s_delay_alu instid0(VALU_DEP_1) | instskip(SKIP_1) | instid1(VALU_DEP_1)
	v_add_f32_e32 v0, v2, v0
	v_fmamk_f32 v2, v214, 0xbf7e222b, v140
	v_dual_fmac_f32 v140, 0x3f7e222b, v214 :: v_dual_add_f32 v1, v2, v1
	v_fmamk_f32 v2, v205, 0x3f62ad3f, v141
	s_delay_alu instid0(VALU_DEP_1) | instskip(SKIP_1) | instid1(VALU_DEP_1)
	v_add_f32_e32 v0, v2, v0
	;; [unrolled: 5-line block ×3, first 2 shown]
	v_mul_f32_e32 v132, 0xbf788fa5, v251
	v_fmamk_f32 v3, v204, 0x3e750f2a, v132
	s_delay_alu instid0(VALU_DEP_1) | instskip(SKIP_1) | instid1(VALU_DEP_1)
	v_dual_fmac_f32 v132, 0xbe750f2a, v204 :: v_dual_add_f32 v3, v3, v131
	v_mul_f32_e32 v131, 0x3f6f5d39, v255
	v_fmamk_f32 v144, v208, 0xbeb58ec6, v131
	s_delay_alu instid0(VALU_DEP_1) | instskip(SKIP_1) | instid1(VALU_DEP_1)
	v_add_f32_e32 v2, v144, v2
	v_mul_f32_e32 v144, 0xbeb58ec6, v254
	v_fmamk_f32 v145, v203, 0xbf6f5d39, v144
	s_delay_alu instid0(VALU_DEP_1) | instskip(SKIP_1) | instid1(VALU_DEP_1)
	v_add_f32_e32 v3, v145, v3
	v_mul_f32_e32 v145, 0x3eedf032, v128
	v_fmamk_f32 v146, v207, 0x3f62ad3f, v145
	s_delay_alu instid0(VALU_DEP_1) | instskip(SKIP_1) | instid1(VALU_DEP_1)
	v_add_f32_e32 v2, v146, v2
	v_mul_f32_e32 v146, 0x3f62ad3f, v195
	v_fmamk_f32 v147, v202, 0xbeedf032, v146
	s_delay_alu instid0(VALU_DEP_1) | instskip(SKIP_1) | instid1(VALU_DEP_1)
	v_dual_fmac_f32 v146, 0x3eedf032, v202 :: v_dual_add_f32 v3, v147, v3
	v_mul_f32_e32 v147, 0xbf52af12, v109
	v_fmamk_f32 v148, v206, 0x3f116cb1, v147
	s_delay_alu instid0(VALU_DEP_1) | instskip(SKIP_1) | instid1(VALU_DEP_1)
	v_add_f32_e32 v2, v148, v2
	v_mul_f32_e32 v148, 0x3f116cb1, v194
	v_fmamk_f32 v149, v214, 0x3f52af12, v148
	s_delay_alu instid0(VALU_DEP_1) | instskip(SKIP_1) | instid1(VALU_DEP_1)
	v_dual_fmac_f32 v148, 0xbf52af12, v214 :: v_dual_add_f32 v3, v149, v3
	v_mul_f32_e32 v149, 0xbf29c268, v130
	v_fmamk_f32 v150, v205, 0xbf3f9e67, v149
	s_delay_alu instid0(VALU_DEP_1) | instskip(SKIP_1) | instid1(VALU_DEP_1)
	v_add_f32_e32 v2, v150, v2
	v_mul_f32_e32 v150, 0xbf3f9e67, v129
	v_fmamk_f32 v151, v210, 0x3f29c268, v150
	s_delay_alu instid0(VALU_DEP_1)
	v_dual_fmac_f32 v150, 0xbf29c268, v210 :: v_dual_add_f32 v3, v151, v3
	v_mul_f32_e32 v151, 0x3f29c268, v253
	ds_store_2addr_b64 v196, v[0:1], v[2:3] offset0:4 offset1:6
	v_fmamk_f32 v0, v209, 0xbf3f9e67, v151
	v_fmamk_f32 v1, v204, 0xbf29c268, v152
	;; [unrolled: 1-line block ×4, first 2 shown]
	v_fmac_f32_e32 v152, 0x3f29c268, v204
	s_delay_alu instid0(VALU_DEP_4) | instskip(SKIP_1) | instid1(VALU_DEP_4)
	v_dual_add_f32 v0, v0, v252 :: v_dual_add_f32 v1, v1, v250
	v_mul_f32_e32 v250, 0x3f52af12, v130
	v_dual_mul_f32 v252, 0x3f116cb1, v129 :: v_dual_add_f32 v3, v3, v248
	s_delay_alu instid0(VALU_DEP_3) | instskip(SKIP_1) | instid1(VALU_DEP_1)
	v_add_f32_e32 v0, v2, v0
	v_fmamk_f32 v2, v203, 0xbeedf032, v154
	v_dual_fmac_f32 v160, 0x3f7e222b, v204 :: v_dual_add_f32 v1, v2, v1
	v_fmamk_f32 v2, v207, 0x3df6dbef, v155
	s_delay_alu instid0(VALU_DEP_1) | instskip(SKIP_1) | instid1(VALU_DEP_1)
	v_add_f32_e32 v0, v2, v0
	v_fmamk_f32 v2, v202, 0x3f7e222b, v156
	v_dual_fmac_f32 v156, 0xbf7e222b, v202 :: v_dual_add_f32 v1, v2, v1
	v_fmamk_f32 v2, v206, 0xbf788fa5, v157
	s_delay_alu instid0(VALU_DEP_1) | instskip(SKIP_1) | instid1(VALU_DEP_1)
	;; [unrolled: 5-line block ×3, first 2 shown]
	v_add_f32_e32 v0, v2, v0
	v_fmamk_f32 v2, v210, 0xbf52af12, v252
	v_dual_fmac_f32 v252, 0x3f52af12, v210 :: v_dual_add_f32 v1, v2, v1
	v_fmamk_f32 v2, v209, 0x3df6dbef, v159
	v_mul_f32_e32 v248, 0xbf52af12, v255
	s_delay_alu instid0(VALU_DEP_1) | instskip(NEXT) | instid1(VALU_DEP_1)
	v_dual_add_f32 v2, v2, v249 :: v_dual_fmamk_f32 v249, v208, 0x3f116cb1, v248
	v_add_f32_e32 v2, v249, v2
	v_mul_f32_e32 v249, 0x3f116cb1, v254
	s_delay_alu instid0(VALU_DEP_1) | instskip(NEXT) | instid1(VALU_DEP_1)
	v_fmamk_f32 v111, v203, 0x3f52af12, v249
	v_add_f32_e32 v3, v111, v3
	v_mul_f32_e32 v111, 0x3e750f2a, v128
	v_mul_f32_e32 v128, 0x3f52af12, v128
	s_delay_alu instid0(VALU_DEP_2) | instskip(NEXT) | instid1(VALU_DEP_1)
	v_fmamk_f32 v161, v207, 0xbf788fa5, v111
	v_dual_add_f32 v2, v161, v2 :: v_dual_mul_f32 v161, 0xbf788fa5, v195
	v_fmac_f32_e32 v225, 0xbf52af12, v204
	s_delay_alu instid0(VALU_DEP_2) | instskip(SKIP_1) | instid1(VALU_DEP_2)
	v_fmamk_f32 v162, v202, 0xbe750f2a, v161
	v_fmac_f32_e32 v161, 0x3e750f2a, v202
	v_dual_add_f32 v3, v162, v3 :: v_dual_mul_f32 v162, 0x3eedf032, v109
	v_fmac_f32_e32 v154, 0x3eedf032, v203
	v_fmac_f32_e32 v249, 0xbf52af12, v203
	;; [unrolled: 1-line block ×4, first 2 shown]
	v_fmamk_f32 v163, v206, 0x3f62ad3f, v162
	s_delay_alu instid0(VALU_DEP_1) | instskip(SKIP_2) | instid1(VALU_DEP_2)
	v_add_f32_e32 v2, v163, v2
	v_mul_f32_e32 v163, 0x3f62ad3f, v194
	v_mul_f32_e32 v194, 0xbeb58ec6, v194
	v_fmamk_f32 v164, v214, 0xbeedf032, v163
	v_fmac_f32_e32 v163, 0x3eedf032, v214
	s_delay_alu instid0(VALU_DEP_2) | instskip(SKIP_1) | instid1(VALU_DEP_2)
	v_dual_add_f32 v3, v164, v3 :: v_dual_mul_f32 v164, 0xbf6f5d39, v130
	v_mul_f32_e32 v130, 0x3f7e222b, v130
	v_fmamk_f32 v165, v205, 0xbeb58ec6, v164
	s_delay_alu instid0(VALU_DEP_1) | instskip(NEXT) | instid1(VALU_DEP_1)
	v_dual_add_f32 v2, v165, v2 :: v_dual_mul_f32 v165, 0xbeb58ec6, v129
	v_fmamk_f32 v166, v210, 0x3f6f5d39, v165
	v_fmac_f32_e32 v165, 0xbf6f5d39, v210
	s_delay_alu instid0(VALU_DEP_2)
	v_add_f32_e32 v3, v166, v3
	v_mul_f32_e32 v166, 0xbf29c268, v255
	ds_store_2addr_b64 v196, v[0:1], v[2:3] offset0:8 offset1:10
	v_mul_f32_e32 v2, 0x3eedf032, v253
	v_mul_f32_e32 v3, 0x3f62ad3f, v251
	v_mul_f32_e32 v195, 0x3f116cb1, v195
	s_delay_alu instid0(VALU_DEP_3) | instskip(NEXT) | instid1(VALU_DEP_3)
	v_fmamk_f32 v0, v209, 0x3f62ad3f, v2
	v_fmamk_f32 v1, v204, 0xbeedf032, v3
	v_fma_f32 v2, 0x3f62ad3f, v209, -v2
	s_delay_alu instid0(VALU_DEP_3) | instskip(NEXT) | instid1(VALU_DEP_3)
	v_dual_fmac_f32 v3, 0x3eedf032, v204 :: v_dual_add_f32 v0, v0, v247
	v_dual_add_f32 v1, v1, v246 :: v_dual_fmamk_f32 v246, v208, 0xbf3f9e67, v166
	s_delay_alu instid0(VALU_DEP_3)
	v_add_f32_e32 v2, v2, v245
	v_fma_f32 v166, 0xbf3f9e67, v208, -v166
	v_mul_f32_e32 v109, 0xbf6f5d39, v109
	v_add_f32_e32 v3, v3, v244
	v_add_f32_e32 v0, v246, v0
	v_mul_f32_e32 v246, 0xbf3f9e67, v254
	v_dual_add_f32 v2, v166, v2 :: v_dual_fmac_f32 v221, 0xbf7e222b, v203
	v_fmac_f32_e32 v243, 0xbe750f2a, v210
	s_delay_alu instid0(VALU_DEP_3) | instskip(NEXT) | instid1(VALU_DEP_1)
	v_fmamk_f32 v247, v203, 0x3f29c268, v246
	v_dual_fmac_f32 v246, 0xbf29c268, v203 :: v_dual_add_f32 v1, v247, v1
	v_fmamk_f32 v247, v207, 0x3f116cb1, v128
	v_fma_f32 v128, 0x3f116cb1, v207, -v128
	s_delay_alu instid0(VALU_DEP_2) | instskip(NEXT) | instid1(VALU_DEP_2)
	v_dual_add_f32 v3, v246, v3 :: v_dual_add_f32 v0, v247, v0
	v_dual_fmamk_f32 v247, v202, 0xbf52af12, v195 :: v_dual_add_f32 v2, v128, v2
	v_add_f32_e32 v128, v115, v14
	v_fmac_f32_e32 v195, 0x3f52af12, v202
	s_delay_alu instid0(VALU_DEP_3) | instskip(SKIP_2) | instid1(VALU_DEP_4)
	v_add_f32_e32 v1, v247, v1
	v_fmamk_f32 v247, v206, 0xbeb58ec6, v109
	v_fma_f32 v109, 0xbeb58ec6, v206, -v109
	v_add_f32_e32 v3, v195, v3
	s_delay_alu instid0(VALU_DEP_3) | instskip(SKIP_1) | instid1(VALU_DEP_4)
	v_dual_add_f32 v0, v247, v0 :: v_dual_fmamk_f32 v247, v214, 0x3f6f5d39, v194
	v_fmac_f32_e32 v194, 0xbf6f5d39, v214
	v_add_f32_e32 v2, v109, v2
	v_fma_f32 v109, 0x3df6dbef, v205, -v130
	s_delay_alu instid0(VALU_DEP_4) | instskip(SKIP_1) | instid1(VALU_DEP_3)
	v_add_f32_e32 v1, v247, v1
	v_fmamk_f32 v247, v205, 0x3df6dbef, v130
	v_dual_add_f32 v3, v194, v3 :: v_dual_add_f32 v2, v109, v2
	v_fma_f32 v109, 0x3f116cb1, v208, -v248
	s_delay_alu instid0(VALU_DEP_3) | instskip(NEXT) | instid1(VALU_DEP_1)
	v_dual_add_f32 v0, v247, v0 :: v_dual_mul_f32 v129, 0x3df6dbef, v129
	v_fmamk_f32 v247, v210, 0xbf7e222b, v129
	v_fmac_f32_e32 v129, 0x3f7e222b, v210
	s_delay_alu instid0(VALU_DEP_2) | instskip(NEXT) | instid1(VALU_DEP_2)
	v_add_f32_e32 v1, v247, v1
	v_add_f32_e32 v3, v129, v3
	ds_store_2addr_b64 v196, v[0:1], v[2:3] offset0:12 offset1:14
	v_fma_f32 v0, 0xbf3f9e67, v209, -v151
	v_fma_f32 v2, 0x3f62ad3f, v208, -v153
	v_add_f32_e32 v1, v152, v241
	v_add_f32_e32 v3, v160, v239
	s_delay_alu instid0(VALU_DEP_2) | instskip(NEXT) | instid1(VALU_DEP_1)
	v_dual_add_f32 v0, v0, v242 :: v_dual_add_f32 v1, v154, v1
	v_dual_add_f32 v3, v249, v3 :: v_dual_add_f32 v0, v2, v0
	v_fma_f32 v2, 0x3df6dbef, v207, -v155
	s_delay_alu instid0(VALU_DEP_3) | instskip(NEXT) | instid1(VALU_DEP_2)
	v_add_f32_e32 v1, v156, v1
	v_dual_add_f32 v3, v161, v3 :: v_dual_add_f32 v0, v2, v0
	v_fma_f32 v2, 0xbf788fa5, v206, -v157
	s_delay_alu instid0(VALU_DEP_3) | instskip(NEXT) | instid1(VALU_DEP_2)
	v_add_f32_e32 v1, v158, v1
	;; [unrolled: 4-line block ×3, first 2 shown]
	v_dual_add_f32 v3, v165, v3 :: v_dual_add_f32 v0, v2, v0
	v_fma_f32 v2, 0x3df6dbef, v209, -v159
	s_delay_alu instid0(VALU_DEP_1) | instskip(NEXT) | instid1(VALU_DEP_1)
	v_add_f32_e32 v2, v2, v240
	v_add_f32_e32 v2, v109, v2
	v_fma_f32 v109, 0xbf788fa5, v207, -v111
	s_delay_alu instid0(VALU_DEP_1) | instskip(SKIP_1) | instid1(VALU_DEP_1)
	v_add_f32_e32 v2, v109, v2
	v_fma_f32 v109, 0x3f62ad3f, v206, -v162
	v_add_f32_e32 v2, v109, v2
	v_fma_f32 v109, 0xbeb58ec6, v205, -v164
	s_delay_alu instid0(VALU_DEP_1)
	v_add_f32_e32 v2, v109, v2
	v_fma_f32 v109, 0xbeb58ec6, v208, -v131
	ds_store_2addr_b64 v196, v[2:3], v[0:1] offset0:16 offset1:18
	v_fma_f32 v0, 0xbeb58ec6, v209, -v135
	v_fma_f32 v2, 0xbf788fa5, v208, -v133
	v_add_f32_e32 v1, v134, v237
	v_add_f32_e32 v3, v132, v235
	s_delay_alu instid0(VALU_DEP_4) | instskip(NEXT) | instid1(VALU_DEP_3)
	v_add_f32_e32 v0, v0, v238
	v_add_f32_e32 v1, v136, v1
	s_delay_alu instid0(VALU_DEP_2) | instskip(SKIP_1) | instid1(VALU_DEP_3)
	v_dual_add_f32 v3, v144, v3 :: v_dual_add_f32 v0, v2, v0
	v_fma_f32 v2, 0xbf3f9e67, v207, -v137
	v_add_f32_e32 v1, v138, v1
	s_delay_alu instid0(VALU_DEP_3) | instskip(NEXT) | instid1(VALU_DEP_3)
	v_add_f32_e32 v3, v146, v3
	v_add_f32_e32 v0, v2, v0
	v_fma_f32 v2, 0x3df6dbef, v206, -v139
	s_delay_alu instid0(VALU_DEP_4) | instskip(NEXT) | instid1(VALU_DEP_2)
	v_add_f32_e32 v1, v140, v1
	v_dual_add_f32 v3, v148, v3 :: v_dual_add_f32 v0, v2, v0
	v_fma_f32 v2, 0x3f62ad3f, v205, -v141
	s_delay_alu instid0(VALU_DEP_3) | instskip(NEXT) | instid1(VALU_DEP_3)
	v_add_f32_e32 v1, v142, v1
	v_add_f32_e32 v3, v150, v3
	s_delay_alu instid0(VALU_DEP_3) | instskip(SKIP_1) | instid1(VALU_DEP_1)
	v_add_f32_e32 v0, v2, v0
	v_fma_f32 v2, 0xbf788fa5, v209, -v143
	v_add_f32_e32 v2, v2, v236
	s_delay_alu instid0(VALU_DEP_1) | instskip(SKIP_1) | instid1(VALU_DEP_1)
	v_add_f32_e32 v2, v109, v2
	v_fma_f32 v109, 0x3f62ad3f, v207, -v145
	v_add_f32_e32 v2, v109, v2
	v_fma_f32 v109, 0x3f116cb1, v206, -v147
	s_delay_alu instid0(VALU_DEP_1) | instskip(SKIP_1) | instid1(VALU_DEP_1)
	v_add_f32_e32 v2, v109, v2
	v_fma_f32 v109, 0xbf3f9e67, v205, -v149
	v_add_f32_e32 v2, v109, v2
	ds_store_2addr_b64 v196, v[2:3], v[0:1] offset0:20 offset1:22
	v_fma_f32 v0, 0x3f116cb1, v209, -v224
	v_add_f32_e32 v1, v225, v232
	v_fma_f32 v2, 0x3df6dbef, v208, -v220
	s_delay_alu instid0(VALU_DEP_2) | instskip(NEXT) | instid1(VALU_DEP_1)
	v_dual_add_f32 v0, v0, v231 :: v_dual_add_f32 v1, v221, v1
	v_add_f32_e32 v0, v2, v0
	v_fma_f32 v2, 0xbeb58ec6, v207, -v216
	s_delay_alu instid0(VALU_DEP_3) | instskip(NEXT) | instid1(VALU_DEP_2)
	v_add_f32_e32 v1, v218, v1
	v_add_f32_e32 v0, v2, v0
	v_fma_f32 v2, 0xbf3f9e67, v206, -v215
	s_delay_alu instid0(VALU_DEP_3) | instskip(NEXT) | instid1(VALU_DEP_2)
	v_add_f32_e32 v1, v226, v1
	v_add_f32_e32 v0, v2, v0
	v_fma_f32 v2, 0xbf788fa5, v205, -v211
	s_delay_alu instid0(VALU_DEP_1) | instskip(SKIP_2) | instid1(VALU_DEP_1)
	v_dual_add_f32 v1, v243, v1 :: v_dual_add_f32 v0, v2, v0
	ds_store_b64 v196, v[0:1] offset:192
	v_dual_add_f32 v0, v233, v118 :: v_dual_add_f32 v1, v234, v184
	v_add_f32_e32 v0, v0, v115
	s_delay_alu instid0(VALU_DEP_1) | instskip(NEXT) | instid1(VALU_DEP_1)
	v_dual_add_f32 v1, v1, v183 :: v_dual_add_f32 v0, v0, v114
	v_dual_add_f32 v1, v1, v119 :: v_dual_add_f32 v0, v0, v5
	s_delay_alu instid0(VALU_DEP_1) | instskip(NEXT) | instid1(VALU_DEP_1)
	v_dual_add_f32 v1, v1, v7 :: v_dual_add_f32 v0, v0, v4
	v_dual_add_f32 v1, v1, v6 :: v_dual_add_f32 v0, v0, v8
	s_delay_alu instid0(VALU_DEP_1) | instskip(NEXT) | instid1(VALU_DEP_1)
	v_add_f32_e32 v0, v0, v10
	v_add_f32_e32 v0, v0, v12
	s_delay_alu instid0(VALU_DEP_1) | instskip(SKIP_1) | instid1(VALU_DEP_2)
	v_add_f32_e32 v0, v0, v14
	v_sub_f32_e32 v14, v115, v14
	v_add_f32_e32 v0, v0, v16
	s_delay_alu instid0(VALU_DEP_1) | instskip(SKIP_2) | instid1(VALU_DEP_2)
	v_add_f32_e32 v0, v0, v18
	v_sub_f32_e32 v18, v184, v17
	v_add_f32_e32 v1, v1, v9
	v_mul_f32_e32 v109, 0xbf52af12, v18
	s_delay_alu instid0(VALU_DEP_2) | instskip(NEXT) | instid1(VALU_DEP_1)
	v_dual_add_f32 v1, v1, v11 :: v_dual_mul_f32 v166, 0x3f7e222b, v18
	v_dual_mul_f32 v146, 0xbe750f2a, v18 :: v_dual_add_f32 v1, v1, v13
	s_delay_alu instid0(VALU_DEP_1) | instskip(NEXT) | instid1(VALU_DEP_1)
	v_add_f32_e32 v1, v1, v15
	v_add_f32_e32 v1, v1, v17
	;; [unrolled: 1-line block ×3, first 2 shown]
	s_delay_alu instid0(VALU_DEP_2) | instskip(SKIP_2) | instid1(VALU_DEP_4)
	v_add_f32_e32 v1, v1, v19
	v_add_f32_e32 v19, v118, v16
	v_sub_f32_e32 v16, v118, v16
	v_dual_sub_f32 v118, v183, v15 :: v_dual_mul_f32 v111, 0x3f116cb1, v17
	v_add_f32_e32 v15, v183, v15
	s_delay_alu instid0(VALU_DEP_4) | instskip(SKIP_1) | instid1(VALU_DEP_4)
	v_fmamk_f32 v2, v19, 0x3f116cb1, v109
	v_mul_f32_e32 v137, 0xbeb58ec6, v17
	v_mul_f32_e32 v115, 0xbf7e222b, v118
	v_fmamk_f32 v3, v16, 0x3f52af12, v111
	v_mul_f32_e32 v184, 0xbf52af12, v118
	v_add_f32_e32 v2, v2, v230
	v_mul_f32_e32 v138, 0xbe750f2a, v118
	v_fmamk_f32 v129, v128, 0x3df6dbef, v115
	s_delay_alu instid0(VALU_DEP_4) | instskip(SKIP_1) | instid1(VALU_DEP_3)
	v_dual_add_f32 v3, v3, v229 :: v_dual_fmamk_f32 v194, v128, 0x3f116cb1, v184
	v_mul_f32_e32 v148, 0x3f6f5d39, v118
	v_dual_mul_f32 v147, 0xbf788fa5, v17 :: v_dual_add_f32 v2, v129, v2
	v_mul_f32_e32 v129, 0x3df6dbef, v15
	v_mul_f32_e32 v158, 0x3eedf032, v118
	s_delay_alu instid0(VALU_DEP_4) | instskip(NEXT) | instid1(VALU_DEP_3)
	v_fmamk_f32 v149, v128, 0xbeb58ec6, v148
	v_fmamk_f32 v130, v14, 0x3f7e222b, v129
	s_delay_alu instid0(VALU_DEP_1) | instskip(SKIP_3) | instid1(VALU_DEP_4)
	v_dual_add_f32 v3, v130, v3 :: v_dual_sub_f32 v130, v119, v13
	v_add_f32_e32 v13, v119, v13
	v_add_f32_e32 v119, v114, v12
	v_sub_f32_e32 v12, v114, v12
	v_mul_f32_e32 v114, 0xbf6f5d39, v130
	v_mul_f32_e32 v160, 0xbf7e222b, v130
	;; [unrolled: 1-line block ×5, first 2 shown]
	v_fmamk_f32 v131, v119, 0xbeb58ec6, v114
	s_delay_alu instid0(VALU_DEP_1) | instskip(NEXT) | instid1(VALU_DEP_1)
	v_dual_add_f32 v2, v131, v2 :: v_dual_mul_f32 v131, 0xbeb58ec6, v13
	v_fmamk_f32 v132, v12, 0x3f6f5d39, v131
	s_delay_alu instid0(VALU_DEP_1) | instskip(SKIP_1) | instid1(VALU_DEP_1)
	v_add_f32_e32 v3, v132, v3
	v_sub_f32_e32 v132, v7, v11
	v_dual_add_f32 v7, v7, v11 :: v_dual_mul_f32 v162, 0x3e750f2a, v132
	v_add_f32_e32 v11, v5, v10
	v_dual_sub_f32 v5, v5, v10 :: v_dual_mul_f32 v10, 0xbf29c268, v132
	v_mul_f32_e32 v139, 0xbf788fa5, v15
	v_mul_f32_e32 v142, 0x3f7e222b, v132
	;; [unrolled: 1-line block ×4, first 2 shown]
	v_fmamk_f32 v133, v11, 0xbf3f9e67, v10
	s_delay_alu instid0(VALU_DEP_1) | instskip(NEXT) | instid1(VALU_DEP_1)
	v_dual_add_f32 v2, v133, v2 :: v_dual_mul_f32 v133, 0xbf3f9e67, v7
	v_fmamk_f32 v134, v5, 0x3f29c268, v133
	s_delay_alu instid0(VALU_DEP_1) | instskip(SKIP_3) | instid1(VALU_DEP_3)
	v_add_f32_e32 v3, v134, v3
	v_sub_f32_e32 v134, v6, v9
	v_dual_add_f32 v6, v6, v9 :: v_dual_add_f32 v9, v4, v8
	v_dual_sub_f32 v4, v4, v8 :: v_dual_mul_f32 v143, 0x3df6dbef, v7
	v_mul_f32_e32 v8, 0xbe750f2a, v134
	v_mul_f32_e32 v144, 0x3eedf032, v134
	s_delay_alu instid0(VALU_DEP_4) | instskip(SKIP_3) | instid1(VALU_DEP_1)
	v_mul_f32_e32 v145, 0x3f62ad3f, v6
	v_mul_f32_e32 v164, 0x3f52af12, v134
	;; [unrolled: 1-line block ×3, first 2 shown]
	v_fmamk_f32 v135, v9, 0xbf788fa5, v8
	v_add_f32_e32 v2, v135, v2
	v_mul_f32_e32 v135, 0xbf788fa5, v6
	s_delay_alu instid0(VALU_DEP_1) | instskip(NEXT) | instid1(VALU_DEP_1)
	v_fmamk_f32 v136, v4, 0x3e750f2a, v135
	v_dual_add_f32 v3, v136, v3 :: v_dual_mul_f32 v136, 0xbf6f5d39, v18
	ds_store_2addr_b64 v197, v[0:1], v[2:3] offset1:2
	v_fmamk_f32 v0, v19, 0xbeb58ec6, v136
	v_fmamk_f32 v1, v16, 0x3f6f5d39, v137
	;; [unrolled: 1-line block ×4, first 2 shown]
	s_delay_alu instid0(VALU_DEP_3) | instskip(NEXT) | instid1(VALU_DEP_1)
	v_dual_add_f32 v0, v0, v228 :: v_dual_add_f32 v1, v1, v227
	v_dual_add_f32 v3, v3, v222 :: v_dual_add_f32 v0, v2, v0
	v_fmamk_f32 v2, v14, 0x3e750f2a, v139
	s_delay_alu instid0(VALU_DEP_1) | instskip(NEXT) | instid1(VALU_DEP_1)
	v_dual_add_f32 v1, v2, v1 :: v_dual_fmamk_f32 v2, v119, 0xbf3f9e67, v140
	v_add_f32_e32 v0, v2, v0
	v_fmamk_f32 v2, v12, 0xbf29c268, v141
	s_delay_alu instid0(VALU_DEP_1) | instskip(NEXT) | instid1(VALU_DEP_1)
	v_dual_add_f32 v1, v2, v1 :: v_dual_fmamk_f32 v2, v11, 0x3df6dbef, v142
	v_add_f32_e32 v0, v2, v0
	v_fmamk_f32 v2, v5, 0xbf7e222b, v143
	s_delay_alu instid0(VALU_DEP_1) | instskip(NEXT) | instid1(VALU_DEP_1)
	v_dual_add_f32 v1, v2, v1 :: v_dual_fmamk_f32 v2, v9, 0x3f62ad3f, v144
	v_add_f32_e32 v0, v2, v0
	v_fmamk_f32 v2, v4, 0xbeedf032, v145
	s_delay_alu instid0(VALU_DEP_1) | instskip(NEXT) | instid1(VALU_DEP_1)
	v_dual_add_f32 v1, v2, v1 :: v_dual_fmamk_f32 v2, v19, 0xbf788fa5, v146
	v_add_f32_e32 v2, v2, v223
	s_delay_alu instid0(VALU_DEP_1) | instskip(NEXT) | instid1(VALU_DEP_1)
	v_dual_add_f32 v2, v149, v2 :: v_dual_mul_f32 v149, 0xbeb58ec6, v15
	v_fmamk_f32 v150, v14, 0xbf6f5d39, v149
	s_delay_alu instid0(VALU_DEP_1) | instskip(NEXT) | instid1(VALU_DEP_1)
	v_dual_add_f32 v3, v150, v3 :: v_dual_mul_f32 v150, 0x3eedf032, v130
	v_fmamk_f32 v151, v119, 0x3f62ad3f, v150
	;; [unrolled: 3-line block ×5, first 2 shown]
	v_mul_f32_e32 v157, 0xbf3f9e67, v17
	v_mul_f32_e32 v183, 0x3df6dbef, v17
	s_delay_alu instid0(VALU_DEP_3) | instskip(NEXT) | instid1(VALU_DEP_1)
	v_dual_add_f32 v3, v154, v3 :: v_dual_mul_f32 v154, 0xbf29c268, v134
	v_fmamk_f32 v155, v9, 0xbf3f9e67, v154
	s_delay_alu instid0(VALU_DEP_1) | instskip(SKIP_1) | instid1(VALU_DEP_1)
	v_add_f32_e32 v2, v155, v2
	v_mul_f32_e32 v155, 0xbf3f9e67, v6
	v_fmamk_f32 v156, v4, 0x3f29c268, v155
	s_delay_alu instid0(VALU_DEP_1)
	v_dual_add_f32 v3, v156, v3 :: v_dual_mul_f32 v156, 0x3f29c268, v18
	ds_store_2addr_b64 v197, v[0:1], v[2:3] offset0:4 offset1:6
	v_fmamk_f32 v0, v19, 0xbf3f9e67, v156
	v_fmamk_f32 v1, v16, 0xbf29c268, v157
	v_fmamk_f32 v2, v128, 0x3f62ad3f, v158
	v_fmamk_f32 v3, v16, 0xbf7e222b, v183
	s_delay_alu instid0(VALU_DEP_4) | instskip(NEXT) | instid1(VALU_DEP_4)
	v_dual_fmac_f32 v183, 0x3f7e222b, v16 :: v_dual_add_f32 v0, v0, v219
	v_add_f32_e32 v1, v1, v217
	s_delay_alu instid0(VALU_DEP_3) | instskip(NEXT) | instid1(VALU_DEP_3)
	v_add_f32_e32 v3, v3, v212
	v_add_f32_e32 v0, v2, v0
	v_fmamk_f32 v2, v14, 0xbeedf032, v159
	s_delay_alu instid0(VALU_DEP_1) | instskip(NEXT) | instid1(VALU_DEP_1)
	v_dual_add_f32 v1, v2, v1 :: v_dual_fmamk_f32 v2, v119, 0x3df6dbef, v160
	v_add_f32_e32 v0, v2, v0
	v_fmamk_f32 v2, v12, 0x3f7e222b, v161
	s_delay_alu instid0(VALU_DEP_1) | instskip(NEXT) | instid1(VALU_DEP_1)
	v_dual_add_f32 v1, v2, v1 :: v_dual_fmamk_f32 v2, v11, 0xbf788fa5, v162
	v_add_f32_e32 v0, v2, v0
	v_fmamk_f32 v2, v5, 0xbe750f2a, v163
	v_fmac_f32_e32 v111, 0xbf52af12, v16
	s_delay_alu instid0(VALU_DEP_2) | instskip(NEXT) | instid1(VALU_DEP_1)
	v_dual_add_f32 v1, v2, v1 :: v_dual_fmamk_f32 v2, v9, 0x3f116cb1, v164
	v_add_f32_e32 v0, v2, v0
	v_fmamk_f32 v2, v4, 0xbf52af12, v165
	v_fmac_f32_e32 v165, 0x3f52af12, v4
	s_delay_alu instid0(VALU_DEP_2) | instskip(NEXT) | instid1(VALU_DEP_1)
	v_dual_add_f32 v1, v2, v1 :: v_dual_fmamk_f32 v2, v19, 0x3df6dbef, v166
	v_dual_add_f32 v2, v2, v213 :: v_dual_fmac_f32 v129, 0xbf7e222b, v14
	s_delay_alu instid0(VALU_DEP_1) | instskip(SKIP_2) | instid1(VALU_DEP_2)
	v_add_f32_e32 v2, v194, v2
	v_mul_f32_e32 v194, 0x3f116cb1, v15
	v_mul_f32_e32 v15, 0xbf3f9e67, v15
	v_fmamk_f32 v195, v14, 0x3f52af12, v194
	s_delay_alu instid0(VALU_DEP_1) | instskip(SKIP_1) | instid1(VALU_DEP_1)
	v_dual_fmac_f32 v194, 0xbf52af12, v14 :: v_dual_add_f32 v3, v195, v3
	v_mul_f32_e32 v195, 0x3e750f2a, v130
	v_fmamk_f32 v196, v119, 0xbf788fa5, v195
	s_delay_alu instid0(VALU_DEP_1) | instskip(SKIP_3) | instid1(VALU_DEP_3)
	v_add_f32_e32 v2, v196, v2
	v_mul_f32_e32 v196, 0xbf788fa5, v13
	v_mul_f32_e32 v13, 0x3f116cb1, v13
	v_fmac_f32_e32 v131, 0xbf6f5d39, v12
	v_fmamk_f32 v202, v12, 0xbe750f2a, v196
	s_delay_alu instid0(VALU_DEP_1) | instskip(SKIP_1) | instid1(VALU_DEP_1)
	v_dual_fmac_f32 v196, 0x3e750f2a, v12 :: v_dual_add_f32 v3, v202, v3
	v_mul_f32_e32 v202, 0x3eedf032, v132
	v_fmamk_f32 v203, v11, 0x3f62ad3f, v202
	s_delay_alu instid0(VALU_DEP_1) | instskip(SKIP_2) | instid1(VALU_DEP_3)
	v_dual_add_f32 v2, v203, v2 :: v_dual_mul_f32 v203, 0x3f62ad3f, v7
	v_mul_f32_e32 v7, 0xbeb58ec6, v7
	v_fmac_f32_e32 v133, 0xbf29c268, v5
	v_fmamk_f32 v204, v5, 0xbeedf032, v203
	v_fmac_f32_e32 v203, 0x3eedf032, v5
	s_delay_alu instid0(VALU_DEP_2) | instskip(NEXT) | instid1(VALU_DEP_1)
	v_dual_add_f32 v3, v204, v3 :: v_dual_mul_f32 v204, 0xbf6f5d39, v134
	v_fmamk_f32 v205, v9, 0xbeb58ec6, v204
	s_delay_alu instid0(VALU_DEP_1) | instskip(SKIP_3) | instid1(VALU_DEP_3)
	v_add_f32_e32 v2, v205, v2
	v_mul_f32_e32 v205, 0xbeb58ec6, v6
	v_mul_f32_e32 v6, 0x3df6dbef, v6
	v_fmac_f32_e32 v143, 0x3f7e222b, v5
	v_fmamk_f32 v206, v4, 0x3f6f5d39, v205
	v_fmac_f32_e32 v205, 0xbf6f5d39, v4
	s_delay_alu instid0(VALU_DEP_2) | instskip(SKIP_4) | instid1(VALU_DEP_3)
	v_add_f32_e32 v3, v206, v3
	ds_store_2addr_b64 v197, v[0:1], v[2:3] offset0:8 offset1:10
	v_mul_f32_e32 v2, 0x3eedf032, v18
	v_mul_f32_e32 v3, 0x3f62ad3f, v17
	v_mul_f32_e32 v17, 0xbf29c268, v118
	v_fmamk_f32 v0, v19, 0x3f62ad3f, v2
	s_delay_alu instid0(VALU_DEP_3) | instskip(NEXT) | instid1(VALU_DEP_3)
	v_fmamk_f32 v1, v16, 0xbeedf032, v3
	v_fmamk_f32 v18, v128, 0xbf3f9e67, v17
	v_fma_f32 v2, 0x3f62ad3f, v19, -v2
	v_fmac_f32_e32 v3, 0x3eedf032, v16
	s_delay_alu instid0(VALU_DEP_4) | instskip(SKIP_1) | instid1(VALU_DEP_3)
	v_dual_add_f32 v0, v0, v200 :: v_dual_add_f32 v1, v1, v201
	v_fma_f32 v17, 0xbf3f9e67, v128, -v17
	v_dual_add_f32 v2, v2, v192 :: v_dual_add_f32 v3, v3, v191
	s_delay_alu instid0(VALU_DEP_3) | instskip(SKIP_2) | instid1(VALU_DEP_4)
	v_add_f32_e32 v0, v18, v0
	v_fmamk_f32 v18, v14, 0x3f29c268, v15
	v_fmac_f32_e32 v15, 0xbf29c268, v14
	v_dual_add_f32 v2, v17, v2 :: v_dual_fmac_f32 v147, 0xbe750f2a, v16
	v_fmac_f32_e32 v141, 0x3f29c268, v12
	s_delay_alu instid0(VALU_DEP_4) | instskip(NEXT) | instid1(VALU_DEP_4)
	v_dual_add_f32 v1, v18, v1 :: v_dual_mul_f32 v18, 0x3f52af12, v130
	v_add_f32_e32 v3, v15, v3
	v_fmac_f32_e32 v145, 0x3eedf032, v4
	v_fmac_f32_e32 v135, 0xbe750f2a, v4
	s_delay_alu instid0(VALU_DEP_4) | instskip(SKIP_1) | instid1(VALU_DEP_2)
	v_fmamk_f32 v118, v119, 0x3f116cb1, v18
	v_fma_f32 v15, 0x3f116cb1, v119, -v18
	v_add_f32_e32 v0, v118, v0
	v_fmamk_f32 v118, v12, 0xbf52af12, v13
	s_delay_alu instid0(VALU_DEP_3) | instskip(SKIP_1) | instid1(VALU_DEP_3)
	v_dual_fmac_f32 v13, 0x3f52af12, v12 :: v_dual_add_f32 v2, v15, v2
	v_fmac_f32_e32 v137, 0xbf6f5d39, v16
	v_dual_add_f32 v1, v118, v1 :: v_dual_mul_f32 v118, 0xbf6f5d39, v132
	s_delay_alu instid0(VALU_DEP_1) | instskip(SKIP_1) | instid1(VALU_DEP_2)
	v_dual_add_f32 v3, v13, v3 :: v_dual_fmamk_f32 v130, v11, 0xbeb58ec6, v118
	v_fma_f32 v13, 0xbeb58ec6, v11, -v118
	v_dual_fmac_f32 v149, 0x3f6f5d39, v14 :: v_dual_add_f32 v0, v130, v0
	v_fmamk_f32 v130, v5, 0x3f6f5d39, v7
	s_delay_alu instid0(VALU_DEP_3) | instskip(NEXT) | instid1(VALU_DEP_2)
	v_dual_fmac_f32 v7, 0xbf6f5d39, v5 :: v_dual_add_f32 v2, v13, v2
	v_dual_add_f32 v1, v130, v1 :: v_dual_mul_f32 v130, 0x3f7e222b, v134
	s_delay_alu instid0(VALU_DEP_1) | instskip(SKIP_1) | instid1(VALU_DEP_2)
	v_dual_add_f32 v3, v7, v3 :: v_dual_fmamk_f32 v132, v9, 0x3df6dbef, v130
	v_fma_f32 v7, 0x3df6dbef, v9, -v130
	v_add_f32_e32 v0, v132, v0
	v_fmamk_f32 v132, v4, 0xbf7e222b, v6
	v_fmac_f32_e32 v6, 0x3f7e222b, v4
	s_delay_alu instid0(VALU_DEP_4)
	v_add_f32_e32 v2, v7, v2
	v_fmac_f32_e32 v139, 0xbe750f2a, v14
	v_fmac_f32_e32 v151, 0x3eedf032, v12
	v_add_f32_e32 v1, v132, v1
	v_add_f32_e32 v3, v6, v3
	v_fma_f32 v6, 0x3f116cb1, v128, -v184
	ds_store_2addr_b64 v197, v[0:1], v[2:3] offset0:12 offset1:14
	v_fma_f32 v0, 0xbf3f9e67, v19, -v156
	v_fma_f32 v2, 0x3f62ad3f, v128, -v158
	s_delay_alu instid0(VALU_DEP_2) | instskip(NEXT) | instid1(VALU_DEP_1)
	v_dual_add_f32 v3, v183, v187 :: v_dual_add_f32 v0, v0, v190
	v_add_f32_e32 v3, v194, v3
	s_delay_alu instid0(VALU_DEP_2) | instskip(SKIP_1) | instid1(VALU_DEP_1)
	v_add_f32_e32 v0, v2, v0
	v_fma_f32 v2, 0x3df6dbef, v119, -v160
	v_dual_add_f32 v3, v196, v3 :: v_dual_add_f32 v0, v2, v0
	v_fma_f32 v2, 0xbf788fa5, v11, -v162
	s_delay_alu instid0(VALU_DEP_2) | instskip(NEXT) | instid1(VALU_DEP_2)
	v_add_f32_e32 v3, v203, v3
	v_dual_fmac_f32 v153, 0xbf52af12, v5 :: v_dual_add_f32 v0, v2, v0
	v_fma_f32 v2, 0x3f116cb1, v9, -v164
	s_delay_alu instid0(VALU_DEP_1) | instskip(SKIP_2) | instid1(VALU_DEP_2)
	v_dual_add_f32 v3, v205, v3 :: v_dual_add_f32 v0, v2, v0
	v_fma_f32 v2, 0x3df6dbef, v19, -v166
	v_fmac_f32_e32 v155, 0xbf29c268, v4
	v_add_f32_e32 v2, v2, v188
	s_delay_alu instid0(VALU_DEP_1) | instskip(SKIP_1) | instid1(VALU_DEP_1)
	v_dual_fmac_f32 v157, 0x3f29c268, v16 :: v_dual_add_f32 v2, v6, v2
	v_fma_f32 v6, 0xbf788fa5, v119, -v195
	v_dual_add_f32 v1, v157, v189 :: v_dual_add_f32 v2, v6, v2
	v_fmac_f32_e32 v159, 0x3eedf032, v14
	v_fma_f32 v6, 0x3f62ad3f, v11, -v202
	s_delay_alu instid0(VALU_DEP_1) | instskip(SKIP_2) | instid1(VALU_DEP_1)
	v_dual_add_f32 v1, v159, v1 :: v_dual_add_f32 v2, v6, v2
	v_fmac_f32_e32 v161, 0xbf7e222b, v12
	v_fma_f32 v6, 0xbeb58ec6, v9, -v204
	v_dual_add_f32 v1, v161, v1 :: v_dual_add_f32 v2, v6, v2
	v_fmac_f32_e32 v163, 0x3e750f2a, v5
	v_fma_f32 v6, 0xbeb58ec6, v128, -v148
	s_delay_alu instid0(VALU_DEP_2) | instskip(NEXT) | instid1(VALU_DEP_1)
	v_add_f32_e32 v1, v163, v1
	v_add_f32_e32 v1, v165, v1
	ds_store_2addr_b64 v197, v[2:3], v[0:1] offset0:16 offset1:18
	v_fma_f32 v0, 0xbeb58ec6, v19, -v136
	v_fma_f32 v2, 0xbf788fa5, v128, -v138
	v_add_f32_e32 v1, v137, v185
	v_add_f32_e32 v3, v147, v22
	s_delay_alu instid0(VALU_DEP_2) | instskip(NEXT) | instid1(VALU_DEP_1)
	v_dual_add_f32 v0, v0, v186 :: v_dual_add_f32 v1, v139, v1
	v_dual_add_f32 v3, v149, v3 :: v_dual_add_f32 v0, v2, v0
	v_fma_f32 v2, 0xbf3f9e67, v119, -v140
	s_delay_alu instid0(VALU_DEP_3) | instskip(NEXT) | instid1(VALU_DEP_2)
	v_add_f32_e32 v1, v141, v1
	v_dual_add_f32 v3, v151, v3 :: v_dual_add_f32 v0, v2, v0
	v_fma_f32 v2, 0x3df6dbef, v11, -v142
	s_delay_alu instid0(VALU_DEP_3) | instskip(NEXT) | instid1(VALU_DEP_2)
	v_add_f32_e32 v1, v143, v1
	v_dual_add_f32 v3, v153, v3 :: v_dual_add_f32 v0, v2, v0
	v_fma_f32 v2, 0x3f62ad3f, v9, -v144
	s_delay_alu instid0(VALU_DEP_3) | instskip(NEXT) | instid1(VALU_DEP_2)
	v_add_f32_e32 v1, v145, v1
	v_dual_add_f32 v3, v155, v3 :: v_dual_add_f32 v0, v2, v0
	v_fma_f32 v2, 0xbf788fa5, v19, -v146
	s_delay_alu instid0(VALU_DEP_1) | instskip(NEXT) | instid1(VALU_DEP_1)
	v_add_f32_e32 v2, v2, v23
	v_add_f32_e32 v2, v6, v2
	v_fma_f32 v6, 0x3f62ad3f, v119, -v150
	s_delay_alu instid0(VALU_DEP_1) | instskip(SKIP_1) | instid1(VALU_DEP_1)
	v_add_f32_e32 v2, v6, v2
	v_fma_f32 v6, 0x3f116cb1, v11, -v152
	v_add_f32_e32 v2, v6, v2
	v_fma_f32 v6, 0xbf3f9e67, v9, -v154
	s_delay_alu instid0(VALU_DEP_1) | instskip(SKIP_4) | instid1(VALU_DEP_2)
	v_add_f32_e32 v2, v6, v2
	ds_store_2addr_b64 v197, v[2:3], v[0:1] offset0:20 offset1:22
	v_fma_f32 v0, 0x3f116cb1, v19, -v109
	v_add_f32_e32 v1, v111, v21
	v_fma_f32 v2, 0x3df6dbef, v128, -v115
	v_dual_add_f32 v0, v0, v20 :: v_dual_add_f32 v1, v129, v1
	s_delay_alu instid0(VALU_DEP_1) | instskip(SKIP_1) | instid1(VALU_DEP_1)
	v_add_f32_e32 v0, v2, v0
	v_fma_f32 v2, 0xbeb58ec6, v119, -v114
	v_dual_add_f32 v1, v131, v1 :: v_dual_add_f32 v0, v2, v0
	v_fma_f32 v2, 0xbf3f9e67, v11, -v10
	s_delay_alu instid0(VALU_DEP_1) | instskip(SKIP_1) | instid1(VALU_DEP_1)
	v_dual_add_f32 v1, v133, v1 :: v_dual_add_f32 v0, v2, v0
	v_fma_f32 v2, 0xbf788fa5, v9, -v8
	v_dual_add_f32 v1, v135, v1 :: v_dual_add_f32 v0, v2, v0
	ds_store_b64 v197, v[0:1] offset:192
	global_wb scope:SCOPE_SE
	s_wait_dscnt 0x0
	s_barrier_signal -1
	s_barrier_wait -1
	global_inv scope:SCOPE_SE
	ds_load_2addr_b64 v[0:3], v193 offset0:104 offset1:156
	ds_load_2addr_b64 v[4:7], v167 offset0:80 offset1:132
	s_wait_dscnt 0x1
	v_mul_f32_e32 v118, v25, v1
	s_wait_dscnt 0x0
	v_dual_mul_f32 v183, v97, v3 :: v_dual_mul_f32 v114, v27, v5
	v_mul_f32_e32 v8, v99, v7
	s_delay_alu instid0(VALU_DEP_3) | instskip(NEXT) | instid1(VALU_DEP_3)
	v_fmac_f32_e32 v118, v24, v0
	v_dual_mul_f32 v0, v25, v0 :: v_dual_fmac_f32 v183, v96, v2
	s_delay_alu instid0(VALU_DEP_4) | instskip(NEXT) | instid1(VALU_DEP_4)
	v_fmac_f32_e32 v114, v26, v4
	v_fmac_f32_e32 v8, v98, v6
	s_delay_alu instid0(VALU_DEP_3) | instskip(SKIP_1) | instid1(VALU_DEP_1)
	v_fma_f32 v119, v24, v1, -v0
	v_mul_f32_e32 v0, v27, v4
	v_fma_f32 v115, v26, v5, -v0
	v_mul_f32_e32 v0, v97, v2
	s_delay_alu instid0(VALU_DEP_1) | instskip(SKIP_1) | instid1(VALU_DEP_1)
	v_fma_f32 v97, v96, v3, -v0
	v_mul_f32_e32 v0, v99, v6
	v_fma_f32 v11, v98, v7, -v0
	ds_load_2addr_b64 v[0:3], v107 offset0:56 offset1:108
	ds_load_2addr_b64 v[4:7], v107 offset0:160 offset1:212
	s_wait_dscnt 0x1
	v_mul_f32_e32 v96, v37, v1
	v_mul_f32_e32 v10, v93, v3
	s_delay_alu instid0(VALU_DEP_2) | instskip(SKIP_2) | instid1(VALU_DEP_3)
	v_fmac_f32_e32 v96, v36, v0
	s_wait_dscnt 0x0
	v_dual_mul_f32 v0, v37, v0 :: v_dual_mul_f32 v37, v39, v5
	v_fmac_f32_e32 v10, v92, v2
	s_delay_alu instid0(VALU_DEP_2) | instskip(SKIP_1) | instid1(VALU_DEP_4)
	v_fma_f32 v36, v36, v1, -v0
	v_mul_f32_e32 v0, v39, v4
	v_fmac_f32_e32 v37, v38, v4
	s_delay_alu instid0(VALU_DEP_2) | instskip(SKIP_1) | instid1(VALU_DEP_1)
	v_fma_f32 v38, v38, v5, -v0
	v_dual_mul_f32 v0, v93, v2 :: v_dual_mul_f32 v9, v95, v7
	v_fma_f32 v15, v92, v3, -v0
	v_mul_f32_e32 v0, v95, v6
	s_delay_alu instid0(VALU_DEP_3) | instskip(NEXT) | instid1(VALU_DEP_2)
	v_fmac_f32_e32 v9, v94, v6
	v_fma_f32 v14, v94, v7, -v0
	ds_load_2addr_b64 v[0:3], v110 offset0:8 offset1:60
	ds_load_2addr_b64 v[4:7], v110 offset0:112 offset1:164
	s_wait_dscnt 0x0
	v_dual_mul_f32 v39, v65, v1 :: v_dual_mul_f32 v12, v91, v7
	s_delay_alu instid0(VALU_DEP_1) | instskip(SKIP_1) | instid1(VALU_DEP_3)
	v_fmac_f32_e32 v39, v64, v0
	v_dual_mul_f32 v0, v65, v0 :: v_dual_mul_f32 v65, v67, v5
	v_dual_mul_f32 v13, v89, v3 :: v_dual_fmac_f32 v12, v90, v6
	s_delay_alu instid0(VALU_DEP_2) | instskip(SKIP_1) | instid1(VALU_DEP_4)
	v_fma_f32 v64, v64, v1, -v0
	v_mul_f32_e32 v0, v67, v4
	v_fmac_f32_e32 v65, v66, v4
	s_delay_alu instid0(VALU_DEP_4) | instskip(NEXT) | instid1(VALU_DEP_3)
	v_fmac_f32_e32 v13, v88, v2
	v_fma_f32 v66, v66, v5, -v0
	v_mul_f32_e32 v0, v89, v2
	s_delay_alu instid0(VALU_DEP_1) | instskip(SKIP_1) | instid1(VALU_DEP_1)
	v_fma_f32 v16, v88, v3, -v0
	v_mul_f32_e32 v0, v91, v6
	v_fma_f32 v17, v90, v7, -v0
	ds_load_2addr_b64 v[0:3], v112 offset0:88 offset1:140
	ds_load_2addr_b64 v[4:7], v108 offset0:64 offset1:116
	s_wait_dscnt 0x1
	v_mul_f32_e32 v67, v41, v1
	v_mul_f32_e32 v18, v85, v3
	s_wait_dscnt 0x0
	s_delay_alu instid0(VALU_DEP_2) | instskip(SKIP_1) | instid1(VALU_DEP_3)
	v_dual_mul_f32 v20, v87, v7 :: v_dual_fmac_f32 v67, v40, v0
	v_dual_mul_f32 v0, v41, v0 :: v_dual_mul_f32 v41, v43, v5
	v_fmac_f32_e32 v18, v84, v2
	s_delay_alu instid0(VALU_DEP_3) | instskip(NEXT) | instid1(VALU_DEP_3)
	v_fmac_f32_e32 v20, v86, v6
	v_fma_f32 v40, v40, v1, -v0
	v_mul_f32_e32 v0, v43, v4
	v_fmac_f32_e32 v41, v42, v4
	s_delay_alu instid0(VALU_DEP_2) | instskip(SKIP_1) | instid1(VALU_DEP_2)
	v_fma_f32 v42, v42, v5, -v0
	v_mul_f32_e32 v0, v85, v2
	v_sub_f32_e32 v185, v64, v42
	s_delay_alu instid0(VALU_DEP_2) | instskip(SKIP_1) | instid1(VALU_DEP_3)
	v_fma_f32 v19, v84, v3, -v0
	v_mul_f32_e32 v0, v87, v6
	v_mul_f32_e32 v192, 0x3f7e222b, v185
	v_add_f32_e32 v98, v39, v41
	s_delay_alu instid0(VALU_DEP_3)
	v_fma_f32 v21, v86, v7, -v0
	ds_load_2addr_b64 v[0:3], v108 offset0:168 offset1:220
	ds_load_2addr_b64 v[4:7], v106 offset0:16 offset1:68
	v_sub_f32_e32 v184, v39, v41
	s_wait_dscnt 0x1
	v_mul_f32_e32 v43, v33, v1
	v_mul_f32_e32 v22, v81, v3
	s_wait_dscnt 0x0
	s_delay_alu instid0(VALU_DEP_2) | instskip(SKIP_1) | instid1(VALU_DEP_3)
	v_dual_mul_f32 v24, v83, v7 :: v_dual_fmac_f32 v43, v32, v0
	v_dual_mul_f32 v0, v33, v0 :: v_dual_mul_f32 v33, v35, v5
	v_fmac_f32_e32 v22, v80, v2
	s_delay_alu instid0(VALU_DEP_3) | instskip(NEXT) | instid1(VALU_DEP_4)
	v_fmac_f32_e32 v24, v82, v6
	v_add_f32_e32 v88, v37, v43
	s_delay_alu instid0(VALU_DEP_4) | instskip(SKIP_2) | instid1(VALU_DEP_3)
	v_fma_f32 v32, v32, v1, -v0
	v_mul_f32_e32 v0, v35, v4
	v_fmac_f32_e32 v33, v34, v4
	v_sub_f32_e32 v92, v38, v32
	s_delay_alu instid0(VALU_DEP_3) | instskip(SKIP_2) | instid1(VALU_DEP_4)
	v_fma_f32 v34, v34, v5, -v0
	v_mul_f32_e32 v0, v81, v2
	v_add_f32_e32 v112, v38, v32
	v_mul_f32_e32 v206, 0x3eedf032, v92
	s_delay_alu instid0(VALU_DEP_4) | instskip(NEXT) | instid1(VALU_DEP_4)
	v_sub_f32_e32 v84, v36, v34
	v_fma_f32 v23, v80, v3, -v0
	v_mul_f32_e32 v0, v83, v6
	v_add_f32_e32 v90, v36, v34
	v_mul_f32_e32 v186, 0x3f29c268, v92
	v_mul_f32_e32 v204, 0x3f6f5d39, v84
	;; [unrolled: 1-line block ×3, first 2 shown]
	v_fma_f32 v25, v82, v7, -v0
	ds_load_2addr_b64 v[0:3], v106 offset0:120 offset1:172
	ds_load_2addr_b64 v[4:7], v113 offset0:96 offset1:148
	s_wait_dscnt 0x1
	v_mul_f32_e32 v35, v29, v1
	s_delay_alu instid0(VALU_DEP_1) | instskip(SKIP_1) | instid1(VALU_DEP_2)
	v_dual_mul_f32 v26, v77, v3 :: v_dual_fmac_f32 v35, v28, v0
	v_mul_f32_e32 v0, v29, v0
	v_fmac_f32_e32 v26, v76, v2
	s_delay_alu instid0(VALU_DEP_2) | instskip(SKIP_3) | instid1(VALU_DEP_2)
	v_fma_f32 v80, v28, v1, -v0
	s_wait_dscnt 0x0
	v_mul_f32_e32 v0, v31, v4
	v_mul_f32_e32 v28, v79, v7
	v_fma_f32 v82, v30, v5, -v0
	v_mul_f32_e32 v0, v77, v2
	s_delay_alu instid0(VALU_DEP_3) | instskip(NEXT) | instid1(VALU_DEP_3)
	v_fmac_f32_e32 v28, v78, v6
	v_sub_f32_e32 v86, v119, v82
	s_delay_alu instid0(VALU_DEP_3)
	v_fma_f32 v27, v76, v3, -v0
	v_mul_f32_e32 v0, v79, v6
	v_sub_f32_e32 v76, v115, v80
	v_mul_f32_e32 v81, v31, v5
	v_add_f32_e32 v113, v119, v82
	v_sub_f32_e32 v31, v114, v35
	v_fma_f32 v29, v78, v7, -v0
	ds_load_2addr_b64 v[0:3], v193 offset1:52
	v_mul_f32_e32 v202, 0xbe750f2a, v76
	v_dual_fmac_f32 v81, v30, v4 :: v_dual_mul_f32 v132, 0xbf3f9e67, v113
	v_dual_mul_f32 v89, 0xbf52af12, v86 :: v_dual_mul_f32 v208, 0xbf52af12, v185
	v_add_f32_e32 v30, v114, v35
	s_delay_alu instid0(VALU_DEP_3) | instskip(SKIP_4) | instid1(VALU_DEP_4)
	v_sub_f32_e32 v99, v118, v81
	v_add_f32_e32 v85, v118, v81
	v_mul_f32_e32 v83, 0xbf6f5d39, v76
	v_dual_add_f32 v78, v115, v80 :: v_dual_add_f32 v77, v96, v33
	v_add_f32_e32 v136, v183, v28
	v_fma_f32 v4, 0x3f116cb1, v85, -v89
	s_delay_alu instid0(VALU_DEP_4) | instskip(NEXT) | instid1(VALU_DEP_4)
	v_fma_f32 v5, 0xbeb58ec6, v30, -v83
	v_dual_mul_f32 v6, 0xbeb58ec6, v78 :: v_dual_sub_f32 v79, v96, v33
	v_sub_f32_e32 v91, v37, v43
	v_dual_add_f32 v189, v64, v42 :: v_dual_fmamk_f32 v134, v99, 0x3f29c268, v132
	s_wait_dscnt 0x0
	s_delay_alu instid0(VALU_DEP_3) | instskip(SKIP_2) | instid1(VALU_DEP_3)
	v_dual_add_f32 v4, v0, v4 :: v_dual_fmamk_f32 v87, v31, 0x3f6f5d39, v6
	v_add_f32_e32 v118, v0, v118
	v_dual_fmac_f32 v6, 0xbf6f5d39, v31 :: v_dual_add_f32 v191, v66, v40
	v_dual_add_f32 v4, v5, v4 :: v_dual_mul_f32 v5, 0x3f116cb1, v113
	v_sub_f32_e32 v197, v66, v40
	v_mul_f32_e32 v213, 0xbf7e222b, v86
	v_fmac_f32_e32 v132, 0xbf29c268, v99
	v_sub_f32_e32 v148, v183, v28
	v_fmamk_f32 v93, v99, 0x3f52af12, v5
	v_fmac_f32_e32 v5, 0xbf52af12, v99
	v_mul_f32_e32 v201, 0x3eedf032, v197
	v_dual_mul_f32 v109, 0xbf788fa5, v78 :: v_dual_add_f32 v132, v1, v132
	v_mul_f32_e32 v211, 0xbf29c268, v197
	s_delay_alu instid0(VALU_DEP_4)
	v_add_f32_e32 v5, v1, v5
	global_wb scope:SCOPE_SE
	v_fmamk_f32 v203, v31, 0x3e750f2a, v109
	v_fmac_f32_e32 v109, 0xbe750f2a, v31
	s_barrier_signal -1
	v_add_f32_e32 v5, v6, v5
	v_fma_f32 v6, 0xbf788fa5, v77, -v94
	s_barrier_wait -1
	global_inv scope:SCOPE_SE
	v_add_f32_e32 v134, v1, v134
	v_add_f32_e32 v4, v6, v4
	v_mul_f32_e32 v6, 0xbf788fa5, v90
	s_delay_alu instid0(VALU_DEP_1) | instskip(SKIP_1) | instid1(VALU_DEP_1)
	v_fmamk_f32 v95, v79, 0x3e750f2a, v6
	v_fmac_f32_e32 v6, 0xbe750f2a, v79
	v_add_f32_e32 v5, v6, v5
	v_fma_f32 v6, 0xbf3f9e67, v88, -v186
	s_delay_alu instid0(VALU_DEP_1) | instskip(SKIP_1) | instid1(VALU_DEP_1)
	v_add_f32_e32 v4, v6, v4
	v_mul_f32_e32 v6, 0xbf3f9e67, v112
	v_fmamk_f32 v187, v91, 0xbf29c268, v6
	v_fmac_f32_e32 v6, 0x3f29c268, v91
	s_delay_alu instid0(VALU_DEP_1) | instskip(SKIP_1) | instid1(VALU_DEP_1)
	v_add_f32_e32 v5, v6, v5
	v_fma_f32 v6, 0x3df6dbef, v98, -v192
	v_add_f32_e32 v4, v6, v4
	v_mul_f32_e32 v6, 0x3df6dbef, v189
	s_delay_alu instid0(VALU_DEP_1) | instskip(SKIP_1) | instid1(VALU_DEP_1)
	v_fmamk_f32 v196, v184, 0xbf7e222b, v6
	v_fmac_f32_e32 v6, 0x3f7e222b, v184
	v_dual_add_f32 v5, v6, v5 :: v_dual_mul_f32 v6, 0x3f62ad3f, v191
	v_sub_f32_e32 v188, v65, v67
	v_dual_add_f32 v190, v65, v67 :: v_dual_mul_f32 v131, 0xbeb58ec6, v113
	s_delay_alu instid0(VALU_DEP_2) | instskip(SKIP_1) | instid1(VALU_DEP_3)
	v_fmamk_f32 v200, v188, 0xbeedf032, v6
	v_fmac_f32_e32 v6, 0x3eedf032, v188
	v_fma_f32 v7, 0x3f62ad3f, v190, -v201
	v_fma_f32 v111, 0xbf3f9e67, v190, -v211
	v_fmamk_f32 v133, v99, 0x3f6f5d39, v131
	v_fmac_f32_e32 v131, 0xbf6f5d39, v99
	v_add_f32_e32 v5, v6, v5
	v_fma_f32 v6, 0x3df6dbef, v85, -v213
	v_add_f32_e32 v4, v7, v4
	v_fma_f32 v7, 0xbf788fa5, v30, -v202
	s_delay_alu instid0(VALU_DEP_3) | instskip(NEXT) | instid1(VALU_DEP_1)
	v_add_f32_e32 v6, v0, v6
	v_dual_add_f32 v6, v7, v6 :: v_dual_mul_f32 v7, 0x3df6dbef, v113
	s_delay_alu instid0(VALU_DEP_1) | instskip(SKIP_1) | instid1(VALU_DEP_2)
	v_fmamk_f32 v212, v99, 0x3f7e222b, v7
	v_fmac_f32_e32 v7, 0xbf7e222b, v99
	v_add_f32_e32 v163, v1, v212
	s_delay_alu instid0(VALU_DEP_2) | instskip(NEXT) | instid1(VALU_DEP_1)
	v_add_f32_e32 v7, v1, v7
	v_add_f32_e32 v7, v109, v7
	v_fma_f32 v109, 0xbeb58ec6, v77, -v204
	s_delay_alu instid0(VALU_DEP_1) | instskip(SKIP_1) | instid1(VALU_DEP_1)
	v_add_f32_e32 v6, v109, v6
	v_mul_f32_e32 v109, 0xbeb58ec6, v90
	v_fmamk_f32 v205, v79, 0xbf6f5d39, v109
	v_fmac_f32_e32 v109, 0x3f6f5d39, v79
	s_delay_alu instid0(VALU_DEP_1) | instskip(SKIP_1) | instid1(VALU_DEP_1)
	v_add_f32_e32 v7, v109, v7
	v_fma_f32 v109, 0x3f62ad3f, v88, -v206
	v_dual_add_f32 v6, v109, v6 :: v_dual_mul_f32 v109, 0x3f62ad3f, v112
	s_delay_alu instid0(VALU_DEP_1) | instskip(SKIP_1) | instid1(VALU_DEP_1)
	v_fmamk_f32 v207, v91, 0xbeedf032, v109
	v_fmac_f32_e32 v109, 0x3eedf032, v91
	v_add_f32_e32 v7, v109, v7
	v_fma_f32 v109, 0x3f116cb1, v98, -v208
	s_delay_alu instid0(VALU_DEP_1) | instskip(NEXT) | instid1(VALU_DEP_1)
	v_dual_add_f32 v6, v109, v6 :: v_dual_mul_f32 v109, 0x3f116cb1, v189
	v_dual_add_f32 v6, v111, v6 :: v_dual_fmamk_f32 v209, v184, 0x3f52af12, v109
	v_fmac_f32_e32 v109, 0xbf52af12, v184
	s_delay_alu instid0(VALU_DEP_1) | instskip(SKIP_1) | instid1(VALU_DEP_1)
	v_add_f32_e32 v7, v109, v7
	v_mul_f32_e32 v109, 0xbf3f9e67, v191
	v_fmamk_f32 v210, v188, 0x3f29c268, v109
	v_fmac_f32_e32 v109, 0xbf29c268, v188
	s_delay_alu instid0(VALU_DEP_1)
	v_add_f32_e32 v7, v109, v7
	v_add_nc_u32_e32 v109, 0x800, v198
	ds_store_2addr_b64 v109, v[6:7], v[4:5] offset0:4 offset1:30
	v_mul_f32_e32 v4, 0xbeedf032, v86
	v_fmamk_f32 v6, v85, 0x3f116cb1, v89
	v_mul_f32_e32 v89, 0xbf6f5d39, v86
	v_mul_f32_e32 v109, 0xbf29c268, v86
	;; [unrolled: 1-line block ×3, first 2 shown]
	v_fmamk_f32 v5, v85, 0x3f62ad3f, v4
	v_fma_f32 v4, 0x3f62ad3f, v85, -v4
	v_fmamk_f32 v111, v85, 0xbeb58ec6, v89
	v_fma_f32 v89, 0xbeb58ec6, v85, -v89
	;; [unrolled: 2-line block ×3, first 2 shown]
	v_dual_fmamk_f32 v129, v85, 0xbf788fa5, v86 :: v_dual_add_f32 v160, v0, v4
	v_fmamk_f32 v7, v85, 0x3df6dbef, v213
	v_fma_f32 v85, 0xbf788fa5, v85, -v86
	v_mul_f32_e32 v86, 0x3f62ad3f, v113
	v_mul_f32_e32 v113, 0xbf788fa5, v113
	v_add_f32_e32 v161, v0, v6
	v_add_f32_e32 v162, v0, v7
	s_delay_alu instid0(VALU_DEP_4)
	v_dual_add_f32 v89, v0, v89 :: v_dual_fmamk_f32 v130, v99, 0x3eedf032, v86
	v_fmac_f32_e32 v86, 0xbeedf032, v99
	v_fmamk_f32 v135, v99, 0x3e750f2a, v113
	v_fmac_f32_e32 v113, 0xbe750f2a, v99
	v_dual_sub_f32 v99, v97, v29 :: v_dual_add_f32 v128, v0, v128
	v_add_f32_e32 v109, v0, v109
	v_add_f32_e32 v129, v0, v129
	s_delay_alu instid0(VALU_DEP_3)
	v_dual_add_f32 v164, v0, v85 :: v_dual_mul_f32 v137, 0xbeedf032, v99
	v_mul_f32_e32 v139, 0xbf52af12, v99
	v_mul_f32_e32 v141, 0xbf7e222b, v99
	;; [unrolled: 1-line block ×5, first 2 shown]
	v_fmamk_f32 v138, v136, 0x3f62ad3f, v137
	v_fma_f32 v137, 0x3f62ad3f, v136, -v137
	v_fmamk_f32 v140, v136, 0x3f116cb1, v139
	v_fma_f32 v139, 0x3f116cb1, v136, -v139
	;; [unrolled: 2-line block ×6, first 2 shown]
	v_dual_add_f32 v136, v97, v29 :: v_dual_add_f32 v111, v0, v111
	v_add_f32_e32 v165, v2, v183
	v_add_f32_e32 v138, v2, v138
	;; [unrolled: 1-line block ×3, first 2 shown]
	s_delay_alu instid0(VALU_DEP_4)
	v_mul_f32_e32 v149, 0x3f62ad3f, v136
	v_mul_f32_e32 v151, 0x3f116cb1, v136
	;; [unrolled: 1-line block ×6, first 2 shown]
	v_fmamk_f32 v150, v148, 0x3eedf032, v149
	v_fmac_f32_e32 v149, 0xbeedf032, v148
	v_fmamk_f32 v152, v148, 0x3f52af12, v151
	v_fmac_f32_e32 v151, 0xbf52af12, v148
	v_fmamk_f32 v159, v148, 0x3e750f2a, v136
	v_fmamk_f32 v154, v148, 0x3f7e222b, v153
	v_fmac_f32_e32 v153, 0xbf7e222b, v148
	v_fmamk_f32 v157, v148, 0x3f6f5d39, v155
	v_fmac_f32_e32 v155, 0xbf6f5d39, v148
	;; [unrolled: 2-line block ×3, first 2 shown]
	v_fmac_f32_e32 v136, 0xbe750f2a, v148
	v_add_f32_e32 v140, v2, v140
	v_add_f32_e32 v139, v2, v139
	;; [unrolled: 1-line block ×7, first 2 shown]
	v_dual_add_f32 v7, v2, v144 :: v_dual_add_f32 v4, v3, v159
	v_dual_add_f32 v148, v0, v5 :: v_dual_add_f32 v5, v2, v147
	v_add_f32_e32 v0, v2, v99
	v_dual_add_f32 v2, v118, v114 :: v_dual_add_f32 v119, v1, v119
	v_add_f32_e32 v130, v1, v130
	v_add_f32_e32 v86, v1, v86
	s_delay_alu instid0(VALU_DEP_3)
	v_dual_add_f32 v93, v1, v93 :: v_dual_add_f32 v2, v2, v96
	v_add_f32_e32 v97, v3, v97
	v_add_f32_e32 v150, v3, v150
	;; [unrolled: 1-line block ×4, first 2 shown]
	v_dual_add_f32 v2, v2, v37 :: v_dual_add_f32 v151, v3, v151
	v_add_f32_e32 v154, v3, v154
	v_add_f32_e32 v153, v3, v153
	s_delay_alu instid0(VALU_DEP_3)
	v_dual_add_f32 v157, v3, v157 :: v_dual_add_f32 v2, v2, v39
	v_add_f32_e32 v155, v3, v155
	v_add_f32_e32 v85, v3, v158
	;; [unrolled: 1-line block ×3, first 2 shown]
	v_mul_f32_e32 v96, 0xbf52af12, v84
	v_add_f32_e32 v2, v2, v65
	v_add_f32_e32 v133, v1, v133
	v_mul_f32_e32 v65, 0xbf3f9e67, v78
	s_delay_alu instid0(VALU_DEP_3) | instskip(NEXT) | instid1(VALU_DEP_1)
	v_dual_fmamk_f32 v99, v77, 0x3f116cb1, v96 :: v_dual_add_f32 v2, v2, v67
	v_dual_mul_f32 v67, 0x3f62ad3f, v90 :: v_dual_add_f32 v2, v2, v41
	v_add_f32_e32 v131, v1, v131
	s_delay_alu instid0(VALU_DEP_2) | instskip(NEXT) | instid1(VALU_DEP_1)
	v_add_f32_e32 v2, v2, v43
	v_dual_add_f32 v2, v2, v33 :: v_dual_add_f32 v135, v1, v135
	s_delay_alu instid0(VALU_DEP_1) | instskip(NEXT) | instid1(VALU_DEP_1)
	v_dual_add_f32 v2, v2, v35 :: v_dual_mul_f32 v35, 0x3f116cb1, v78
	v_add_f32_e32 v2, v2, v81
	v_add_f32_e32 v113, v1, v113
	;; [unrolled: 1-line block ×4, first 2 shown]
	v_fmamk_f32 v33, v31, 0x3f52af12, v35
	v_mul_f32_e32 v81, 0x3df6dbef, v112
	s_delay_alu instid0(VALU_DEP_3) | instskip(NEXT) | instid1(VALU_DEP_3)
	v_add_f32_e32 v3, v3, v36
	v_dual_mul_f32 v36, 0xbf7e222b, v84 :: v_dual_add_f32 v33, v33, v130
	s_delay_alu instid0(VALU_DEP_2) | instskip(NEXT) | instid1(VALU_DEP_2)
	v_add_f32_e32 v3, v3, v38
	v_fmamk_f32 v37, v77, 0x3df6dbef, v36
	s_delay_alu instid0(VALU_DEP_2) | instskip(NEXT) | instid1(VALU_DEP_1)
	v_add_f32_e32 v3, v3, v64
	v_dual_add_f32 v3, v3, v66 :: v_dual_mul_f32 v66, 0x3eedf032, v84
	s_delay_alu instid0(VALU_DEP_1) | instskip(NEXT) | instid1(VALU_DEP_1)
	v_add_f32_e32 v3, v3, v40
	v_add_f32_e32 v3, v3, v42
	s_delay_alu instid0(VALU_DEP_1) | instskip(NEXT) | instid1(VALU_DEP_1)
	v_add_f32_e32 v3, v3, v32
	v_dual_add_f32 v3, v3, v34 :: v_dual_mul_f32 v34, 0xbf52af12, v76
	s_delay_alu instid0(VALU_DEP_1) | instskip(NEXT) | instid1(VALU_DEP_1)
	v_dual_add_f32 v3, v3, v80 :: v_dual_fmamk_f32 v32, v30, 0x3f116cb1, v34
	v_dual_mul_f32 v80, 0xbf7e222b, v92 :: v_dual_add_f32 v3, v3, v82
	s_delay_alu instid0(VALU_DEP_2) | instskip(SKIP_1) | instid1(VALU_DEP_2)
	v_add_f32_e32 v32, v32, v148
	v_mul_f32_e32 v82, 0x3e750f2a, v185
	v_dual_add_f32 v32, v37, v32 :: v_dual_mul_f32 v37, 0x3df6dbef, v90
	s_delay_alu instid0(VALU_DEP_1) | instskip(NEXT) | instid1(VALU_DEP_1)
	v_fmamk_f32 v38, v79, 0x3f7e222b, v37
	v_dual_add_f32 v33, v38, v33 :: v_dual_mul_f32 v38, 0xbf6f5d39, v92
	s_delay_alu instid0(VALU_DEP_1) | instskip(NEXT) | instid1(VALU_DEP_1)
	v_fmamk_f32 v39, v88, 0xbeb58ec6, v38
	v_add_f32_e32 v32, v39, v32
	v_mul_f32_e32 v39, 0xbeb58ec6, v112
	s_delay_alu instid0(VALU_DEP_1) | instskip(NEXT) | instid1(VALU_DEP_1)
	v_fmamk_f32 v40, v91, 0x3f6f5d39, v39
	v_add_f32_e32 v33, v40, v33
	v_mul_f32_e32 v40, 0xbf29c268, v185
	s_delay_alu instid0(VALU_DEP_1) | instskip(NEXT) | instid1(VALU_DEP_1)
	v_fmamk_f32 v41, v98, 0xbf3f9e67, v40
	v_dual_add_f32 v32, v41, v32 :: v_dual_mul_f32 v41, 0xbf3f9e67, v189
	s_delay_alu instid0(VALU_DEP_1) | instskip(NEXT) | instid1(VALU_DEP_1)
	v_fmamk_f32 v42, v184, 0x3f29c268, v41
	v_add_f32_e32 v33, v42, v33
	v_mul_f32_e32 v42, 0xbe750f2a, v197
	s_delay_alu instid0(VALU_DEP_1) | instskip(NEXT) | instid1(VALU_DEP_1)
	v_fmamk_f32 v43, v190, 0xbf788fa5, v42
	v_dual_add_f32 v32, v43, v32 :: v_dual_mul_f32 v43, 0xbf788fa5, v191
	s_delay_alu instid0(VALU_DEP_1) | instskip(NEXT) | instid1(VALU_DEP_1)
	v_fmamk_f32 v64, v188, 0x3e750f2a, v43
	v_dual_add_f32 v33, v64, v33 :: v_dual_fmamk_f32 v64, v77, 0xbeb58ec6, v204
	ds_store_2addr_b64 v198, v[2:3], v[32:33] offset1:26
	v_fmamk_f32 v2, v30, 0xbeb58ec6, v83
	v_dual_fmamk_f32 v32, v77, 0xbf788fa5, v94 :: v_dual_add_f32 v3, v87, v93
	v_add_f32_e32 v33, v203, v163
	v_mul_f32_e32 v83, 0xbf788fa5, v189
	s_delay_alu instid0(VALU_DEP_4) | instskip(SKIP_3) | instid1(VALU_DEP_4)
	v_add_f32_e32 v2, v2, v161
	v_mul_f32_e32 v87, 0x3f52af12, v197
	v_add_f32_e32 v3, v95, v3
	v_add_f32_e32 v33, v205, v33
	v_dual_mul_f32 v93, 0x3f116cb1, v191 :: v_dual_add_f32 v2, v32, v2
	s_delay_alu instid0(VALU_DEP_3) | instskip(NEXT) | instid1(VALU_DEP_3)
	v_dual_fmamk_f32 v32, v88, 0xbf3f9e67, v186 :: v_dual_add_f32 v3, v187, v3
	v_dual_add_f32 v33, v207, v33 :: v_dual_mul_f32 v94, 0x3f7e222b, v76
	v_mul_f32_e32 v95, 0x3df6dbef, v78
	s_delay_alu instid0(VALU_DEP_3) | instskip(NEXT) | instid1(VALU_DEP_4)
	v_add_f32_e32 v2, v32, v2
	v_dual_fmamk_f32 v32, v98, 0x3df6dbef, v192 :: v_dual_add_f32 v3, v196, v3
	s_delay_alu instid0(VALU_DEP_1) | instskip(NEXT) | instid1(VALU_DEP_2)
	v_dual_add_f32 v33, v209, v33 :: v_dual_add_f32 v2, v32, v2
	v_dual_fmamk_f32 v32, v190, 0x3f62ad3f, v201 :: v_dual_add_f32 v3, v200, v3
	s_delay_alu instid0(VALU_DEP_1) | instskip(SKIP_1) | instid1(VALU_DEP_1)
	v_dual_add_f32 v33, v210, v33 :: v_dual_add_f32 v2, v32, v2
	v_fmamk_f32 v32, v30, 0xbf788fa5, v202
	v_add_f32_e32 v32, v32, v162
	s_delay_alu instid0(VALU_DEP_1) | instskip(SKIP_1) | instid1(VALU_DEP_1)
	v_add_f32_e32 v32, v64, v32
	v_fmamk_f32 v64, v88, 0x3f62ad3f, v206
	v_add_f32_e32 v32, v64, v32
	v_fmamk_f32 v64, v98, 0x3f116cb1, v208
	s_delay_alu instid0(VALU_DEP_1) | instskip(SKIP_1) | instid1(VALU_DEP_1)
	v_add_f32_e32 v32, v64, v32
	v_fmamk_f32 v64, v190, 0xbf3f9e67, v211
	v_add_f32_e32 v32, v64, v32
	v_mul_f32_e32 v64, 0x3f29c268, v76
	ds_store_2addr_b64 v198, v[2:3], v[32:33] offset0:52 offset1:78
	v_fmamk_f32 v2, v30, 0xbf3f9e67, v64
	v_fmamk_f32 v3, v31, 0xbf29c268, v65
	;; [unrolled: 1-line block ×3, first 2 shown]
	s_delay_alu instid0(VALU_DEP_3) | instskip(NEXT) | instid1(VALU_DEP_3)
	v_dual_fmamk_f32 v33, v31, 0xbf7e222b, v95 :: v_dual_add_f32 v2, v2, v111
	v_add_f32_e32 v3, v3, v133
	s_delay_alu instid0(VALU_DEP_2) | instskip(NEXT) | instid1(VALU_DEP_3)
	v_add_f32_e32 v33, v33, v134
	v_add_f32_e32 v2, v32, v2
	v_fmamk_f32 v32, v79, 0xbeedf032, v67
	s_delay_alu instid0(VALU_DEP_1) | instskip(SKIP_1) | instid1(VALU_DEP_1)
	v_add_f32_e32 v3, v32, v3
	v_fmamk_f32 v32, v88, 0x3df6dbef, v80
	v_add_f32_e32 v2, v32, v2
	v_fmamk_f32 v32, v91, 0x3f7e222b, v81
	s_delay_alu instid0(VALU_DEP_1) | instskip(NEXT) | instid1(VALU_DEP_1)
	v_dual_add_f32 v3, v32, v3 :: v_dual_fmamk_f32 v32, v98, 0xbf788fa5, v82
	v_add_f32_e32 v2, v32, v2
	v_fmamk_f32 v32, v184, 0xbe750f2a, v83
	s_delay_alu instid0(VALU_DEP_1) | instskip(NEXT) | instid1(VALU_DEP_1)
	v_dual_add_f32 v3, v32, v3 :: v_dual_fmamk_f32 v32, v190, 0x3f116cb1, v87
	;; [unrolled: 4-line block ×3, first 2 shown]
	v_add_f32_e32 v32, v32, v128
	s_delay_alu instid0(VALU_DEP_1) | instskip(SKIP_1) | instid1(VALU_DEP_2)
	v_dual_add_f32 v32, v99, v32 :: v_dual_mul_f32 v99, 0x3f116cb1, v90
	v_fmac_f32_e32 v35, 0xbf52af12, v31
	v_fmamk_f32 v111, v79, 0x3f52af12, v99
	s_delay_alu instid0(VALU_DEP_1) | instskip(SKIP_1) | instid1(VALU_DEP_1)
	v_add_f32_e32 v33, v111, v33
	v_mul_f32_e32 v111, 0x3e750f2a, v92
	v_fmamk_f32 v114, v88, 0xbf788fa5, v111
	s_delay_alu instid0(VALU_DEP_1) | instskip(SKIP_1) | instid1(VALU_DEP_1)
	v_add_f32_e32 v32, v114, v32
	v_mul_f32_e32 v114, 0xbf788fa5, v112
	v_fmamk_f32 v115, v91, 0xbe750f2a, v114
	s_delay_alu instid0(VALU_DEP_1) | instskip(SKIP_1) | instid1(VALU_DEP_1)
	v_dual_fmac_f32 v114, 0x3e750f2a, v91 :: v_dual_add_f32 v33, v115, v33
	v_mul_f32_e32 v115, 0x3eedf032, v185
	v_fmamk_f32 v118, v98, 0x3f62ad3f, v115
	s_delay_alu instid0(VALU_DEP_1) | instskip(SKIP_1) | instid1(VALU_DEP_1)
	v_add_f32_e32 v32, v118, v32
	v_mul_f32_e32 v118, 0x3f62ad3f, v189
	v_fmamk_f32 v119, v184, 0xbeedf032, v118
	s_delay_alu instid0(VALU_DEP_1) | instskip(SKIP_1) | instid1(VALU_DEP_1)
	v_dual_fmac_f32 v118, 0x3eedf032, v184 :: v_dual_add_f32 v33, v119, v33
	v_mul_f32_e32 v119, 0xbf6f5d39, v197
	v_fmamk_f32 v128, v190, 0xbeb58ec6, v119
	s_delay_alu instid0(VALU_DEP_1) | instskip(SKIP_3) | instid1(VALU_DEP_3)
	v_add_f32_e32 v32, v128, v32
	v_mul_f32_e32 v128, 0xbeb58ec6, v191
	v_fmac_f32_e32 v37, 0xbf7e222b, v79
	v_fmac_f32_e32 v39, 0xbf6f5d39, v91
	v_fmamk_f32 v130, v188, 0x3f6f5d39, v128
	s_delay_alu instid0(VALU_DEP_1)
	v_dual_fmac_f32 v128, 0xbf6f5d39, v188 :: v_dual_add_f32 v33, v130, v33
	v_mul_f32_e32 v130, 0x3df6dbef, v191
	v_fmac_f32_e32 v81, 0xbf7e222b, v91
	ds_store_2addr_b64 v198, v[2:3], v[32:33] offset0:104 offset1:130
	v_mul_f32_e32 v32, 0x3eedf032, v76
	v_mul_f32_e32 v76, 0xbf29c268, v84
	s_delay_alu instid0(VALU_DEP_2) | instskip(NEXT) | instid1(VALU_DEP_2)
	v_dual_mul_f32 v33, 0x3f62ad3f, v78 :: v_dual_fmamk_f32 v2, v30, 0x3f62ad3f, v32
	v_fmamk_f32 v78, v77, 0xbf3f9e67, v76
	s_delay_alu instid0(VALU_DEP_2) | instskip(SKIP_1) | instid1(VALU_DEP_4)
	v_fmamk_f32 v3, v31, 0xbeedf032, v33
	v_fma_f32 v32, 0x3f62ad3f, v30, -v32
	v_dual_fmac_f32 v33, 0x3eedf032, v31 :: v_dual_add_f32 v2, v2, v129
	v_fma_f32 v76, 0xbf3f9e67, v77, -v76
	s_delay_alu instid0(VALU_DEP_3) | instskip(NEXT) | instid1(VALU_DEP_3)
	v_dual_add_f32 v3, v3, v135 :: v_dual_add_f32 v32, v32, v164
	v_dual_add_f32 v33, v33, v113 :: v_dual_add_f32 v2, v78, v2
	v_mul_f32_e32 v78, 0xbf3f9e67, v90
	s_delay_alu instid0(VALU_DEP_3) | instskip(SKIP_2) | instid1(VALU_DEP_4)
	v_dual_fmac_f32 v65, 0x3f29c268, v31 :: v_dual_add_f32 v32, v76, v32
	v_fmac_f32_e32 v67, 0x3eedf032, v79
	v_fmac_f32_e32 v41, 0xbf29c268, v184
	v_fmamk_f32 v84, v79, 0x3f29c268, v78
	v_fmac_f32_e32 v78, 0xbf29c268, v79
	v_fmac_f32_e32 v43, 0xbe750f2a, v188
	s_delay_alu instid0(VALU_DEP_3) | instskip(NEXT) | instid1(VALU_DEP_1)
	v_dual_add_f32 v3, v84, v3 :: v_dual_mul_f32 v84, 0x3f52af12, v92
	v_dual_add_f32 v33, v78, v33 :: v_dual_fmamk_f32 v90, v88, 0x3f116cb1, v84
	v_fma_f32 v76, 0x3f116cb1, v88, -v84
	s_delay_alu instid0(VALU_DEP_2) | instskip(SKIP_1) | instid1(VALU_DEP_3)
	v_add_f32_e32 v2, v90, v2
	v_mul_f32_e32 v90, 0x3f116cb1, v112
	v_add_f32_e32 v32, v76, v32
	v_fmac_f32_e32 v83, 0x3e750f2a, v184
	s_delay_alu instid0(VALU_DEP_3) | instskip(SKIP_1) | instid1(VALU_DEP_2)
	v_fmamk_f32 v92, v91, 0xbf52af12, v90
	v_fmac_f32_e32 v90, 0x3f52af12, v91
	v_dual_add_f32 v3, v92, v3 :: v_dual_mul_f32 v92, 0xbf6f5d39, v185
	s_delay_alu instid0(VALU_DEP_2) | instskip(NEXT) | instid1(VALU_DEP_2)
	v_add_f32_e32 v33, v90, v33
	v_fmamk_f32 v112, v98, 0xbeb58ec6, v92
	v_fma_f32 v76, 0xbeb58ec6, v98, -v92
	s_delay_alu instid0(VALU_DEP_2) | instskip(SKIP_1) | instid1(VALU_DEP_3)
	v_add_f32_e32 v2, v112, v2
	v_mul_f32_e32 v112, 0xbeb58ec6, v189
	v_add_f32_e32 v32, v76, v32
	v_fmac_f32_e32 v93, 0x3f52af12, v188
	s_delay_alu instid0(VALU_DEP_3) | instskip(NEXT) | instid1(VALU_DEP_1)
	v_fmamk_f32 v129, v184, 0x3f6f5d39, v112
	v_dual_fmac_f32 v112, 0xbf6f5d39, v184 :: v_dual_add_f32 v3, v129, v3
	v_mul_f32_e32 v129, 0x3f7e222b, v197
	s_delay_alu instid0(VALU_DEP_2) | instskip(NEXT) | instid1(VALU_DEP_2)
	v_add_f32_e32 v33, v112, v33
	v_fmamk_f32 v133, v190, 0x3df6dbef, v129
	v_fma_f32 v76, 0x3df6dbef, v190, -v129
	s_delay_alu instid0(VALU_DEP_2) | instskip(SKIP_1) | instid1(VALU_DEP_3)
	v_dual_add_f32 v2, v133, v2 :: v_dual_fmamk_f32 v133, v188, 0xbf7e222b, v130
	v_fmac_f32_e32 v130, 0x3f7e222b, v188
	v_dual_add_f32 v32, v76, v32 :: v_dual_fmac_f32 v95, 0x3f7e222b, v31
	s_delay_alu instid0(VALU_DEP_3) | instskip(NEXT) | instid1(VALU_DEP_3)
	v_add_f32_e32 v3, v133, v3
	v_add_f32_e32 v33, v130, v33
	ds_store_2addr_b64 v198, v[2:3], v[32:33] offset0:156 offset1:182
	v_fma_f32 v2, 0xbf3f9e67, v30, -v64
	v_fma_f32 v32, 0x3f62ad3f, v77, -v66
	v_add_f32_e32 v3, v65, v131
	v_add_f32_e32 v33, v95, v132
	v_fma_f32 v64, 0x3f116cb1, v77, -v96
	s_delay_alu instid0(VALU_DEP_3) | instskip(NEXT) | instid1(VALU_DEP_1)
	v_dual_add_f32 v2, v2, v89 :: v_dual_add_f32 v3, v67, v3
	v_add_f32_e32 v2, v32, v2
	v_fma_f32 v32, 0x3df6dbef, v88, -v80
	s_delay_alu instid0(VALU_DEP_1) | instskip(SKIP_1) | instid1(VALU_DEP_1)
	v_dual_add_f32 v3, v81, v3 :: v_dual_add_f32 v2, v32, v2
	v_fma_f32 v32, 0xbf788fa5, v98, -v82
	v_dual_add_f32 v3, v83, v3 :: v_dual_add_f32 v2, v32, v2
	v_fma_f32 v32, 0x3f116cb1, v190, -v87
	s_delay_alu instid0(VALU_DEP_1) | instskip(SKIP_1) | instid1(VALU_DEP_1)
	v_dual_add_f32 v3, v93, v3 :: v_dual_add_f32 v2, v32, v2
	v_fma_f32 v32, 0x3df6dbef, v30, -v94
	v_dual_add_f32 v32, v32, v109 :: v_dual_fmac_f32 v99, 0xbf52af12, v79
	s_delay_alu instid0(VALU_DEP_1) | instskip(SKIP_1) | instid1(VALU_DEP_1)
	v_dual_add_f32 v32, v64, v32 :: v_dual_add_f32 v33, v99, v33
	v_fma_f32 v64, 0xbf788fa5, v88, -v111
	v_dual_add_f32 v33, v114, v33 :: v_dual_add_f32 v32, v64, v32
	v_fma_f32 v64, 0x3f62ad3f, v98, -v115
	s_delay_alu instid0(VALU_DEP_1) | instskip(SKIP_1) | instid1(VALU_DEP_2)
	v_dual_add_f32 v33, v118, v33 :: v_dual_add_f32 v32, v64, v32
	v_fma_f32 v64, 0xbeb58ec6, v190, -v119
	v_add_f32_e32 v33, v128, v33
	s_delay_alu instid0(VALU_DEP_2)
	v_add_f32_e32 v32, v64, v32
	ds_store_2addr_b64 v198, v[32:33], v[2:3] offset0:208 offset1:234
	v_fma_f32 v2, 0x3f116cb1, v30, -v34
	v_fma_f32 v30, 0x3df6dbef, v77, -v36
	v_add_f32_e32 v3, v35, v86
	v_add_f32_e32 v35, v9, v22
	;; [unrolled: 1-line block ×4, first 2 shown]
	v_sub_f32_e32 v32, v15, v25
	s_delay_alu instid0(VALU_DEP_2) | instskip(SKIP_2) | instid1(VALU_DEP_2)
	v_add_f32_e32 v2, v30, v2
	v_fma_f32 v30, 0xbeb58ec6, v88, -v38
	v_add_f32_e32 v38, v13, v20
	v_add_f32_e32 v2, v30, v2
	v_fma_f32 v30, 0xbf3f9e67, v98, -v40
	v_sub_f32_e32 v40, v17, v19
	s_delay_alu instid0(VALU_DEP_2) | instskip(SKIP_2) | instid1(VALU_DEP_1)
	v_add_f32_e32 v2, v30, v2
	v_fma_f32 v30, 0xbf788fa5, v190, -v42
	v_dual_add_f32 v42, v12, v18 :: v_dual_add_f32 v3, v37, v3
	v_dual_add_f32 v2, v30, v2 :: v_dual_add_f32 v3, v39, v3
	s_delay_alu instid0(VALU_DEP_1) | instskip(SKIP_1) | instid1(VALU_DEP_2)
	v_add_f32_e32 v3, v41, v3
	v_add_f32_e32 v41, v17, v19
	;; [unrolled: 1-line block ×3, first 2 shown]
	v_sub_f32_e32 v43, v12, v18
	ds_store_b64 v198, v[2:3] offset:2496
	v_add_f32_e32 v2, v165, v8
	s_delay_alu instid0(VALU_DEP_1) | instskip(NEXT) | instid1(VALU_DEP_1)
	v_dual_add_f32 v3, v97, v11 :: v_dual_add_f32 v2, v2, v10
	v_add_f32_e32 v2, v2, v9
	s_delay_alu instid0(VALU_DEP_1) | instskip(NEXT) | instid1(VALU_DEP_1)
	v_add_f32_e32 v2, v2, v13
	v_add_f32_e32 v2, v2, v12
	v_mul_f32_e32 v12, 0xbe750f2a, v40
	s_delay_alu instid0(VALU_DEP_2) | instskip(NEXT) | instid1(VALU_DEP_1)
	v_add_f32_e32 v2, v2, v18
	v_add_f32_e32 v2, v2, v20
	s_delay_alu instid0(VALU_DEP_1) | instskip(SKIP_1) | instid1(VALU_DEP_2)
	v_add_f32_e32 v2, v2, v22
	v_dual_sub_f32 v22, v9, v22 :: v_dual_add_f32 v3, v3, v15
	v_add_f32_e32 v2, v2, v24
	s_delay_alu instid0(VALU_DEP_2) | instskip(SKIP_2) | instid1(VALU_DEP_3)
	v_dual_sub_f32 v24, v10, v24 :: v_dual_add_f32 v3, v3, v14
	v_sub_f32_e32 v39, v13, v20
	v_mul_f32_e32 v10, 0xbf7e222b, v32
	v_dual_add_f32 v2, v2, v26 :: v_dual_add_f32 v3, v3, v16
	s_delay_alu instid0(VALU_DEP_1) | instskip(SKIP_1) | instid1(VALU_DEP_3)
	v_add_f32_e32 v2, v2, v28
	v_sub_f32_e32 v28, v11, v27
	v_add_f32_e32 v3, v3, v17
	v_fmamk_f32 v17, v42, 0xbf788fa5, v12
	v_fma_f32 v12, 0xbf788fa5, v42, -v12
	v_add_f32_e32 v37, v16, v21
	s_delay_alu instid0(VALU_DEP_4) | instskip(NEXT) | instid1(VALU_DEP_1)
	v_add_f32_e32 v3, v3, v19
	v_add_f32_e32 v3, v3, v21
	s_delay_alu instid0(VALU_DEP_1) | instskip(NEXT) | instid1(VALU_DEP_1)
	v_add_f32_e32 v3, v3, v23
	v_add_f32_e32 v3, v3, v25
	;; [unrolled: 1-line block ×3, first 2 shown]
	v_fmamk_f32 v15, v33, 0x3df6dbef, v10
	v_fma_f32 v10, 0x3df6dbef, v33, -v10
	s_delay_alu instid0(VALU_DEP_4) | instskip(SKIP_2) | instid1(VALU_DEP_3)
	v_add_f32_e32 v3, v3, v27
	v_add_f32_e32 v27, v11, v27
	v_mul_f32_e32 v11, 0xbf52af12, v28
	v_add_f32_e32 v3, v3, v29
	v_add_f32_e32 v29, v8, v26
	v_sub_f32_e32 v26, v8, v26
	v_mul_f32_e32 v30, 0x3f116cb1, v27
	s_delay_alu instid0(VALU_DEP_3) | instskip(SKIP_1) | instid1(VALU_DEP_3)
	v_fmamk_f32 v8, v29, 0x3f116cb1, v11
	v_fma_f32 v11, 0x3f116cb1, v29, -v11
	v_fmamk_f32 v31, v26, 0x3f52af12, v30
	v_fmac_f32_e32 v30, 0xbf52af12, v26
	s_delay_alu instid0(VALU_DEP_3) | instskip(NEXT) | instid1(VALU_DEP_3)
	v_dual_add_f32 v8, v8, v138 :: v_dual_add_f32 v11, v11, v137
	v_add_f32_e32 v31, v31, v150
	s_delay_alu instid0(VALU_DEP_2) | instskip(NEXT) | instid1(VALU_DEP_3)
	v_dual_add_f32 v8, v15, v8 :: v_dual_mul_f32 v15, 0x3df6dbef, v25
	v_add_f32_e32 v10, v10, v11
	s_delay_alu instid0(VALU_DEP_2) | instskip(SKIP_1) | instid1(VALU_DEP_2)
	v_fmamk_f32 v34, v24, 0x3f7e222b, v15
	v_fmac_f32_e32 v15, 0xbf7e222b, v24
	v_add_f32_e32 v31, v34, v31
	v_sub_f32_e32 v34, v14, v23
	s_delay_alu instid0(VALU_DEP_1) | instskip(NEXT) | instid1(VALU_DEP_1)
	v_dual_add_f32 v23, v14, v23 :: v_dual_mul_f32 v14, 0xbf6f5d39, v34
	v_dual_mul_f32 v36, 0xbeb58ec6, v23 :: v_dual_fmamk_f32 v9, v35, 0xbeb58ec6, v14
	v_fma_f32 v14, 0xbeb58ec6, v35, -v14
	s_delay_alu instid0(VALU_DEP_2) | instskip(NEXT) | instid1(VALU_DEP_2)
	v_dual_add_f32 v8, v9, v8 :: v_dual_fmamk_f32 v9, v22, 0x3f6f5d39, v36
	v_add_f32_e32 v10, v14, v10
	v_fmac_f32_e32 v36, 0xbf6f5d39, v22
	s_delay_alu instid0(VALU_DEP_3) | instskip(SKIP_1) | instid1(VALU_DEP_1)
	v_dual_mul_f32 v14, 0xbe750f2a, v32 :: v_dual_add_f32 v9, v9, v31
	v_sub_f32_e32 v31, v16, v21
	v_mul_f32_e32 v13, 0xbf29c268, v31
	s_delay_alu instid0(VALU_DEP_1) | instskip(SKIP_1) | instid1(VALU_DEP_2)
	v_fmamk_f32 v16, v38, 0xbf3f9e67, v13
	v_fma_f32 v13, 0xbf3f9e67, v38, -v13
	v_add_f32_e32 v8, v16, v8
	v_mul_f32_e32 v16, 0xbf3f9e67, v37
	s_delay_alu instid0(VALU_DEP_3) | instskip(NEXT) | instid1(VALU_DEP_3)
	v_dual_add_f32 v10, v13, v10 :: v_dual_mul_f32 v13, 0xbeb58ec6, v27
	v_add_f32_e32 v8, v17, v8
	s_delay_alu instid0(VALU_DEP_3) | instskip(NEXT) | instid1(VALU_DEP_3)
	v_fmamk_f32 v20, v39, 0x3f29c268, v16
	v_dual_mul_f32 v17, 0xbf788fa5, v41 :: v_dual_add_f32 v76, v12, v10
	v_mul_f32_e32 v12, 0xbf6f5d39, v28
	s_delay_alu instid0(VALU_DEP_3) | instskip(NEXT) | instid1(VALU_DEP_3)
	v_dual_fmac_f32 v16, 0xbf29c268, v39 :: v_dual_add_f32 v9, v20, v9
	v_fmamk_f32 v18, v43, 0x3e750f2a, v17
	v_fmac_f32_e32 v17, 0xbe750f2a, v43
	s_delay_alu instid0(VALU_DEP_2) | instskip(SKIP_1) | instid1(VALU_DEP_1)
	v_dual_fmamk_f32 v10, v29, 0xbeb58ec6, v12 :: v_dual_add_f32 v9, v18, v9
	v_add_f32_e32 v18, v30, v149
	v_dual_add_f32 v10, v10, v140 :: v_dual_add_f32 v11, v15, v18
	v_fmamk_f32 v15, v33, 0xbf788fa5, v14
	s_delay_alu instid0(VALU_DEP_1) | instskip(SKIP_1) | instid1(VALU_DEP_2)
	v_dual_add_f32 v11, v36, v11 :: v_dual_add_f32 v10, v15, v10
	v_mul_f32_e32 v15, 0xbf788fa5, v25
	v_add_f32_e32 v11, v16, v11
	s_delay_alu instid0(VALU_DEP_2) | instskip(SKIP_1) | instid1(VALU_DEP_3)
	v_fmamk_f32 v16, v24, 0x3e750f2a, v15
	v_fmac_f32_e32 v15, 0xbe750f2a, v24
	v_add_f32_e32 v77, v17, v11
	v_fmamk_f32 v11, v26, 0x3f6f5d39, v13
	v_fmac_f32_e32 v13, 0xbf6f5d39, v26
	s_delay_alu instid0(VALU_DEP_2) | instskip(NEXT) | instid1(VALU_DEP_2)
	v_add_f32_e32 v11, v11, v152
	v_add_f32_e32 v13, v13, v151
	s_delay_alu instid0(VALU_DEP_2) | instskip(NEXT) | instid1(VALU_DEP_2)
	v_dual_add_f32 v11, v16, v11 :: v_dual_mul_f32 v16, 0x3f29c268, v34
	v_add_f32_e32 v13, v15, v13
	v_mul_f32_e32 v15, 0xbf788fa5, v27
	s_delay_alu instid0(VALU_DEP_3) | instskip(NEXT) | instid1(VALU_DEP_1)
	v_fmamk_f32 v17, v35, 0xbf3f9e67, v16
	v_dual_add_f32 v10, v17, v10 :: v_dual_mul_f32 v17, 0xbf3f9e67, v23
	s_delay_alu instid0(VALU_DEP_1) | instskip(SKIP_2) | instid1(VALU_DEP_3)
	v_fmamk_f32 v18, v22, 0xbf29c268, v17
	v_fma_f32 v12, 0xbeb58ec6, v29, -v12
	v_fmac_f32_e32 v17, 0x3f29c268, v22
	v_add_f32_e32 v11, v18, v11
	v_mul_f32_e32 v18, 0x3f7e222b, v31
	s_delay_alu instid0(VALU_DEP_1) | instskip(NEXT) | instid1(VALU_DEP_1)
	v_dual_add_f32 v12, v12, v139 :: v_dual_fmamk_f32 v19, v38, 0x3df6dbef, v18
	v_add_f32_e32 v10, v19, v10
	v_fma_f32 v14, 0xbf788fa5, v33, -v14
	s_delay_alu instid0(VALU_DEP_1) | instskip(SKIP_2) | instid1(VALU_DEP_3)
	v_dual_add_f32 v12, v14, v12 :: v_dual_mul_f32 v19, 0x3df6dbef, v37
	v_fma_f32 v14, 0xbf3f9e67, v35, -v16
	v_mul_f32_e32 v16, 0x3f6f5d39, v32
	v_fmamk_f32 v20, v39, 0xbf7e222b, v19
	s_delay_alu instid0(VALU_DEP_3) | instskip(SKIP_1) | instid1(VALU_DEP_3)
	v_add_f32_e32 v12, v14, v12
	v_fma_f32 v14, 0x3df6dbef, v38, -v18
	v_dual_add_f32 v11, v20, v11 :: v_dual_mul_f32 v20, 0x3eedf032, v40
	s_delay_alu instid0(VALU_DEP_2) | instskip(NEXT) | instid1(VALU_DEP_2)
	v_add_f32_e32 v12, v14, v12
	v_fma_f32 v14, 0x3f62ad3f, v42, -v20
	v_fmamk_f32 v21, v42, 0x3f62ad3f, v20
	s_delay_alu instid0(VALU_DEP_2) | instskip(SKIP_1) | instid1(VALU_DEP_3)
	v_add_f32_e32 v78, v14, v12
	v_mul_f32_e32 v14, 0xbe750f2a, v28
	v_dual_add_f32 v10, v21, v10 :: v_dual_mul_f32 v21, 0x3f62ad3f, v41
	s_delay_alu instid0(VALU_DEP_2) | instskip(SKIP_1) | instid1(VALU_DEP_3)
	v_fmamk_f32 v12, v29, 0xbf788fa5, v14
	v_fma_f32 v14, 0xbf788fa5, v29, -v14
	v_dual_fmamk_f32 v30, v43, 0xbeedf032, v21 :: v_dual_add_f32 v13, v17, v13
	s_delay_alu instid0(VALU_DEP_3) | instskip(NEXT) | instid1(VALU_DEP_3)
	v_dual_fmamk_f32 v17, v33, 0xbeb58ec6, v16 :: v_dual_add_f32 v12, v12, v142
	v_dual_fmac_f32 v21, 0x3eedf032, v43 :: v_dual_add_f32 v14, v14, v141
	v_fma_f32 v16, 0xbeb58ec6, v33, -v16
	s_delay_alu instid0(VALU_DEP_3) | instskip(NEXT) | instid1(VALU_DEP_2)
	v_dual_add_f32 v12, v17, v12 :: v_dual_mul_f32 v17, 0xbeb58ec6, v25
	v_add_f32_e32 v14, v16, v14
	s_delay_alu instid0(VALU_DEP_2) | instskip(SKIP_2) | instid1(VALU_DEP_2)
	v_fmamk_f32 v18, v24, 0xbf6f5d39, v17
	v_fmac_f32_e32 v19, 0x3f7e222b, v39
	v_fmac_f32_e32 v17, 0x3f6f5d39, v24
	v_add_f32_e32 v13, v19, v13
	s_delay_alu instid0(VALU_DEP_1) | instskip(SKIP_2) | instid1(VALU_DEP_2)
	v_add_f32_e32 v79, v21, v13
	v_fmamk_f32 v13, v26, 0x3e750f2a, v15
	v_fmac_f32_e32 v15, 0xbe750f2a, v26
	v_add_f32_e32 v13, v13, v154
	s_delay_alu instid0(VALU_DEP_2) | instskip(NEXT) | instid1(VALU_DEP_2)
	v_add_f32_e32 v15, v15, v153
	v_dual_add_f32 v13, v18, v13 :: v_dual_mul_f32 v18, 0x3eedf032, v34
	s_delay_alu instid0(VALU_DEP_2)
	v_add_f32_e32 v15, v17, v15
	ds_store_2addr_b64 v199, v[2:3], v[8:9] offset1:26
	v_add_nc_u32_e32 v2, 0x800, v199
	v_fmamk_f32 v19, v35, 0x3f62ad3f, v18
	v_fma_f32 v16, 0x3f62ad3f, v35, -v18
	v_mul_f32_e32 v18, 0x3f29c268, v28
	s_delay_alu instid0(VALU_DEP_3) | instskip(NEXT) | instid1(VALU_DEP_3)
	v_dual_add_f32 v12, v19, v12 :: v_dual_mul_f32 v19, 0x3f62ad3f, v23
	v_add_f32_e32 v14, v16, v14
	s_delay_alu instid0(VALU_DEP_2) | instskip(SKIP_1) | instid1(VALU_DEP_2)
	v_fmamk_f32 v20, v22, 0xbeedf032, v19
	v_fmac_f32_e32 v19, 0x3eedf032, v22
	v_dual_add_f32 v13, v20, v13 :: v_dual_mul_f32 v20, 0xbf52af12, v31
	s_delay_alu instid0(VALU_DEP_2) | instskip(SKIP_1) | instid1(VALU_DEP_3)
	v_add_f32_e32 v15, v19, v15
	v_mul_f32_e32 v19, 0xbf3f9e67, v27
	v_fmamk_f32 v21, v38, 0x3f116cb1, v20
	v_fma_f32 v16, 0x3f116cb1, v38, -v20
	v_dual_mul_f32 v20, 0x3eedf032, v32 :: v_dual_add_f32 v11, v30, v11
	s_delay_alu instid0(VALU_DEP_3) | instskip(NEXT) | instid1(VALU_DEP_3)
	v_dual_fmamk_f32 v17, v26, 0xbf29c268, v19 :: v_dual_add_f32 v12, v21, v12
	v_dual_mul_f32 v21, 0x3f116cb1, v37 :: v_dual_add_f32 v14, v16, v14
	v_fmac_f32_e32 v19, 0x3f29c268, v26
	s_delay_alu instid0(VALU_DEP_2) | instskip(SKIP_1) | instid1(VALU_DEP_3)
	v_dual_add_f32 v17, v17, v157 :: v_dual_fmamk_f32 v30, v39, 0x3f52af12, v21
	v_fmac_f32_e32 v21, 0xbf52af12, v39
	v_add_f32_e32 v19, v19, v155
	s_delay_alu instid0(VALU_DEP_3) | instskip(NEXT) | instid1(VALU_DEP_3)
	v_dual_add_f32 v13, v30, v13 :: v_dual_mul_f32 v30, 0xbf29c268, v40
	v_add_f32_e32 v15, v21, v15
	v_fmamk_f32 v21, v33, 0x3f62ad3f, v20
	v_fma_f32 v20, 0x3f62ad3f, v33, -v20
	s_delay_alu instid0(VALU_DEP_4) | instskip(SKIP_1) | instid1(VALU_DEP_2)
	v_fma_f32 v16, 0xbf3f9e67, v42, -v30
	v_fmamk_f32 v36, v42, 0xbf3f9e67, v30
	v_add_f32_e32 v14, v16, v14
	v_fmamk_f32 v16, v29, 0xbf3f9e67, v18
	s_delay_alu instid0(VALU_DEP_3) | instskip(SKIP_2) | instid1(VALU_DEP_4)
	v_add_f32_e32 v12, v36, v12
	v_mul_f32_e32 v36, 0xbf3f9e67, v41
	v_fma_f32 v18, 0xbf3f9e67, v29, -v18
	v_add_f32_e32 v16, v16, v145
	s_delay_alu instid0(VALU_DEP_3) | instskip(SKIP_1) | instid1(VALU_DEP_4)
	v_fmamk_f32 v64, v43, 0x3f29c268, v36
	v_fmac_f32_e32 v36, 0xbf29c268, v43
	v_add_f32_e32 v18, v18, v143
	s_delay_alu instid0(VALU_DEP_4) | instskip(NEXT) | instid1(VALU_DEP_3)
	v_dual_add_f32 v16, v21, v16 :: v_dual_mul_f32 v21, 0x3f62ad3f, v25
	v_add_f32_e32 v15, v36, v15
	s_delay_alu instid0(VALU_DEP_3) | instskip(NEXT) | instid1(VALU_DEP_3)
	v_add_f32_e32 v18, v20, v18
	v_fmamk_f32 v30, v24, 0xbeedf032, v21
	v_fmac_f32_e32 v21, 0x3eedf032, v24
	s_delay_alu instid0(VALU_DEP_2) | instskip(NEXT) | instid1(VALU_DEP_1)
	v_dual_add_f32 v17, v30, v17 :: v_dual_mul_f32 v30, 0xbf7e222b, v34
	v_dual_add_f32 v19, v21, v19 :: v_dual_fmamk_f32 v36, v35, 0x3df6dbef, v30
	v_fma_f32 v20, 0x3df6dbef, v35, -v30
	v_dual_mul_f32 v30, 0x3f7e222b, v28 :: v_dual_add_f32 v13, v64, v13
	v_mul_f32_e32 v28, 0x3eedf032, v28
	s_delay_alu instid0(VALU_DEP_4) | instskip(SKIP_2) | instid1(VALU_DEP_2)
	v_add_f32_e32 v16, v36, v16
	v_mul_f32_e32 v36, 0x3df6dbef, v23
	v_add_f32_e32 v18, v20, v18
	v_fmamk_f32 v64, v22, 0x3f7e222b, v36
	s_delay_alu instid0(VALU_DEP_1) | instskip(SKIP_1) | instid1(VALU_DEP_2)
	v_dual_fmac_f32 v36, 0xbf7e222b, v22 :: v_dual_add_f32 v17, v64, v17
	v_mul_f32_e32 v64, 0x3e750f2a, v31
	v_add_f32_e32 v19, v36, v19
	v_mul_f32_e32 v36, 0x3df6dbef, v27
	v_mul_f32_e32 v27, 0x3f62ad3f, v27
	s_delay_alu instid0(VALU_DEP_4)
	v_fmamk_f32 v65, v38, 0xbf788fa5, v64
	v_fma_f32 v20, 0xbf788fa5, v38, -v64
	v_mul_f32_e32 v64, 0xbf52af12, v32
	v_fmamk_f32 v21, v26, 0xbf7e222b, v36
	v_fmac_f32_e32 v36, 0x3f7e222b, v26
	v_dual_add_f32 v16, v65, v16 :: v_dual_mul_f32 v65, 0xbf788fa5, v37
	s_delay_alu instid0(VALU_DEP_3) | instskip(NEXT) | instid1(VALU_DEP_3)
	v_dual_add_f32 v18, v20, v18 :: v_dual_add_f32 v21, v21, v85
	v_add_f32_e32 v6, v36, v6
	s_delay_alu instid0(VALU_DEP_3) | instskip(SKIP_1) | instid1(VALU_DEP_2)
	v_fmamk_f32 v66, v39, 0xbe750f2a, v65
	v_fmac_f32_e32 v65, 0x3e750f2a, v39
	v_dual_add_f32 v17, v66, v17 :: v_dual_mul_f32 v66, 0x3f52af12, v40
	s_delay_alu instid0(VALU_DEP_2) | instskip(SKIP_1) | instid1(VALU_DEP_3)
	v_add_f32_e32 v19, v65, v19
	v_fmamk_f32 v65, v33, 0x3f116cb1, v64
	v_fma_f32 v20, 0x3f116cb1, v42, -v66
	s_delay_alu instid0(VALU_DEP_1) | instskip(SKIP_1) | instid1(VALU_DEP_2)
	v_dual_fmamk_f32 v67, v42, 0x3f116cb1, v66 :: v_dual_add_f32 v18, v20, v18
	v_fmamk_f32 v20, v29, 0x3df6dbef, v30
	v_dual_add_f32 v16, v67, v16 :: v_dual_mul_f32 v67, 0x3f116cb1, v41
	v_fma_f32 v30, 0x3df6dbef, v29, -v30
	s_delay_alu instid0(VALU_DEP_3) | instskip(NEXT) | instid1(VALU_DEP_3)
	v_add_f32_e32 v20, v20, v146
	v_fmamk_f32 v80, v43, 0xbf52af12, v67
	v_fmac_f32_e32 v67, 0x3f52af12, v43
	s_delay_alu instid0(VALU_DEP_3) | instskip(SKIP_1) | instid1(VALU_DEP_4)
	v_dual_add_f32 v7, v30, v7 :: v_dual_add_f32 v20, v65, v20
	v_mul_f32_e32 v65, 0x3f116cb1, v25
	v_add_f32_e32 v17, v80, v17
	s_delay_alu instid0(VALU_DEP_4) | instskip(SKIP_4) | instid1(VALU_DEP_4)
	v_add_f32_e32 v19, v67, v19
	v_fma_f32 v30, 0x3f116cb1, v33, -v64
	v_mul_f32_e32 v25, 0xbf3f9e67, v25
	v_fmamk_f32 v66, v24, 0x3f52af12, v65
	v_fmac_f32_e32 v65, 0xbf52af12, v24
	v_add_f32_e32 v7, v30, v7
	s_delay_alu instid0(VALU_DEP_3) | instskip(NEXT) | instid1(VALU_DEP_1)
	v_dual_add_f32 v21, v66, v21 :: v_dual_mul_f32 v66, 0x3e750f2a, v34
	v_dual_add_f32 v6, v65, v6 :: v_dual_fmamk_f32 v67, v35, 0xbf788fa5, v66
	v_fma_f32 v30, 0xbf788fa5, v35, -v66
	s_delay_alu instid0(VALU_DEP_2) | instskip(NEXT) | instid1(VALU_DEP_2)
	v_dual_add_f32 v20, v67, v20 :: v_dual_mul_f32 v67, 0xbf788fa5, v23
	v_add_f32_e32 v7, v30, v7
	v_mul_f32_e32 v23, 0x3f116cb1, v23
	s_delay_alu instid0(VALU_DEP_3) | instskip(SKIP_1) | instid1(VALU_DEP_2)
	v_fmamk_f32 v80, v22, 0xbe750f2a, v67
	v_fmac_f32_e32 v67, 0x3e750f2a, v22
	v_dual_add_f32 v21, v80, v21 :: v_dual_mul_f32 v80, 0x3eedf032, v31
	s_delay_alu instid0(VALU_DEP_2) | instskip(NEXT) | instid1(VALU_DEP_2)
	v_add_f32_e32 v6, v67, v6
	v_fma_f32 v30, 0x3f62ad3f, v38, -v80
	v_fmamk_f32 v81, v38, 0x3f62ad3f, v80
	s_delay_alu instid0(VALU_DEP_2) | instskip(NEXT) | instid1(VALU_DEP_2)
	v_dual_add_f32 v7, v30, v7 :: v_dual_fmamk_f32 v30, v29, 0x3f62ad3f, v28
	v_dual_add_f32 v20, v81, v20 :: v_dual_mul_f32 v81, 0x3f62ad3f, v37
	v_fma_f32 v28, 0x3f62ad3f, v29, -v28
	s_delay_alu instid0(VALU_DEP_3)
	v_add_f32_e32 v5, v30, v5
	v_fmamk_f32 v30, v26, 0xbeedf032, v27
	v_fmac_f32_e32 v27, 0x3eedf032, v26
	v_fmamk_f32 v82, v39, 0xbeedf032, v81
	v_mul_f32_e32 v26, 0x3f52af12, v34
	v_add_f32_e32 v0, v28, v0
	v_add_f32_e32 v4, v30, v4
	v_dual_mul_f32 v30, 0xbf29c268, v32 :: v_dual_add_f32 v1, v27, v1
	v_dual_add_f32 v21, v82, v21 :: v_dual_mul_f32 v82, 0xbf6f5d39, v40
	v_fmamk_f32 v29, v35, 0x3f116cb1, v26
	s_delay_alu instid0(VALU_DEP_3) | instskip(SKIP_3) | instid1(VALU_DEP_4)
	v_fmamk_f32 v32, v33, 0xbf3f9e67, v30
	v_fma_f32 v27, 0xbf3f9e67, v33, -v30
	v_fmac_f32_e32 v81, 0x3eedf032, v39
	v_fmamk_f32 v83, v42, 0xbeb58ec6, v82
	v_add_f32_e32 v5, v32, v5
	v_fmamk_f32 v32, v24, 0x3f29c268, v25
	v_fmac_f32_e32 v25, 0xbf29c268, v24
	v_fmamk_f32 v24, v22, 0xbf52af12, v23
	v_fmac_f32_e32 v23, 0x3f52af12, v22
	v_mul_f32_e32 v22, 0xbf6f5d39, v31
	s_delay_alu instid0(VALU_DEP_4) | instskip(SKIP_1) | instid1(VALU_DEP_2)
	v_dual_add_f32 v4, v32, v4 :: v_dual_add_f32 v1, v25, v1
	v_dual_add_f32 v5, v29, v5 :: v_dual_add_f32 v0, v27, v0
	v_dual_fmamk_f32 v25, v38, 0xbeb58ec6, v22 :: v_dual_add_f32 v4, v24, v4
	v_fma_f32 v24, 0x3f116cb1, v35, -v26
	s_delay_alu instid0(VALU_DEP_4) | instskip(SKIP_2) | instid1(VALU_DEP_4)
	v_add_f32_e32 v1, v23, v1
	v_dual_mul_f32 v23, 0xbeb58ec6, v37 :: v_dual_add_f32 v20, v83, v20
	v_mul_f32_e32 v83, 0xbeb58ec6, v41
	v_dual_add_f32 v5, v25, v5 :: v_dual_add_f32 v24, v24, v0
	v_fma_f32 v22, 0xbeb58ec6, v38, -v22
	s_delay_alu instid0(VALU_DEP_4)
	v_fmamk_f32 v25, v39, 0x3f6f5d39, v23
	v_fmac_f32_e32 v23, 0xbf6f5d39, v39
	v_fma_f32 v0, 0xbeb58ec6, v42, -v82
	v_mul_f32_e32 v26, 0x3f7e222b, v40
	v_mul_f32_e32 v27, 0x3df6dbef, v41
	v_fmamk_f32 v84, v43, 0x3f6f5d39, v83
	v_dual_add_f32 v6, v81, v6 :: v_dual_fmac_f32 v83, 0xbf6f5d39, v43
	v_dual_add_f32 v0, v0, v7 :: v_dual_add_f32 v7, v25, v4
	v_fmamk_f32 v4, v42, 0x3df6dbef, v26
	v_add_f32_e32 v22, v22, v24
	v_fmamk_f32 v24, v43, 0xbf7e222b, v27
	v_add_f32_e32 v23, v23, v1
	v_fma_f32 v25, 0x3df6dbef, v42, -v26
	v_fmac_f32_e32 v27, 0x3f7e222b, v43
	v_add_f32_e32 v21, v84, v21
	v_dual_add_f32 v1, v83, v6 :: v_dual_add_f32 v4, v4, v5
	s_delay_alu instid0(VALU_DEP_4) | instskip(NEXT) | instid1(VALU_DEP_4)
	v_dual_add_f32 v5, v24, v7 :: v_dual_add_f32 v6, v25, v22
	v_add_f32_e32 v7, v27, v23
	ds_store_2addr_b64 v199, v[10:11], v[12:13] offset0:52 offset1:78
	ds_store_2addr_b64 v199, v[16:17], v[20:21] offset0:104 offset1:130
	;; [unrolled: 1-line block ×5, first 2 shown]
	ds_store_b64 v199, v[76:77] offset:2496
	v_add_nc_u32_e32 v0, 0x1c00, v193
	global_wb scope:SCOPE_SE
	s_wait_dscnt 0x0
	s_barrier_signal -1
	s_barrier_wait -1
	global_inv scope:SCOPE_SE
	ds_load_2addr_b64 v[36:39], v107 offset0:82 offset1:134
	ds_load_2addr_b64 v[40:43], v110 offset0:164 offset1:216
	;; [unrolled: 1-line block ×10, first 2 shown]
	ds_load_2addr_b64 v[8:11], v193 offset1:52
	ds_load_2addr_b64 v[4:7], v193 offset0:104 offset1:156
	s_and_saveexec_b32 s0, vcc_lo
	s_cbranch_execz .LBB0_7
; %bb.6:
	ds_load_b64 v[78:79], v193 offset:2496
	ds_load_b64 v[76:77], v193 offset:5200
	;; [unrolled: 1-line block ×4, first 2 shown]
.LBB0_7:
	s_wait_alu 0xfffe
	s_or_b32 exec_lo, exec_lo, s0
	s_wait_dscnt 0xb
	v_mul_f32_e32 v80, v49, v37
	v_mul_f32_e32 v49, v49, v36
	s_wait_dscnt 0xa
	v_mul_f32_e32 v81, v51, v41
	v_mul_f32_e32 v51, v51, v40
	v_fmac_f32_e32 v80, v48, v36
	v_fma_f32 v36, v48, v37, -v49
	s_wait_dscnt 0x9
	v_dual_mul_f32 v48, v182, v64 :: v_dual_mul_f32 v49, v45, v39
	v_mul_f32_e32 v37, v182, v65
	v_fmac_f32_e32 v81, v50, v40
	v_fma_f32 v40, v50, v41, -v51
	v_mul_f32_e32 v50, v125, v66
	v_fmac_f32_e32 v49, v44, v38
	v_dual_mul_f32 v38, v45, v38 :: v_dual_mul_f32 v45, v47, v43
	v_mul_f32_e32 v47, v47, v42
	v_fmac_f32_e32 v37, v181, v64
	v_fma_f32 v41, v181, v65, -v48
	s_delay_alu instid0(VALU_DEP_4)
	v_fma_f32 v38, v44, v39, -v38
	v_fmac_f32_e32 v45, v46, v42
	v_fma_f32 v39, v46, v43, -v47
	v_fma_f32 v42, v124, v67, -v50
	s_wait_dscnt 0x3
	v_mul_f32_e32 v50, v127, v33
	v_mul_f32_e32 v43, v61, v25
	;; [unrolled: 1-line block ×5, first 2 shown]
	v_fmac_f32_e32 v50, v126, v32
	v_fmac_f32_e32 v43, v60, v24
	v_fma_f32 v24, v60, v25, -v44
	v_mul_f32_e32 v44, v59, v31
	v_fmac_f32_e32 v46, v62, v28
	v_mul_f32_e32 v28, v127, v32
	v_mul_f32_e32 v32, v57, v26
	v_fma_f32 v25, v62, v29, -v47
	v_mul_f32_e32 v29, v57, v27
	v_mul_f32_e32 v47, v59, v30
	v_fma_f32 v28, v126, v33, -v28
	v_fma_f32 v32, v56, v27, -v32
	v_fmac_f32_e32 v44, v58, v30
	v_fmac_f32_e32 v29, v56, v26
	v_mul_f32_e32 v26, v121, v34
	v_mul_f32_e32 v33, v69, v21
	v_mul_f32_e32 v56, v53, v23
	v_fma_f32 v30, v58, v31, -v47
	v_mul_f32_e32 v31, v121, v35
	v_mul_f32_e32 v27, v69, v20
	s_delay_alu instid0(VALU_DEP_4) | instskip(NEXT) | instid1(VALU_DEP_3)
	v_dual_mul_f32 v47, v71, v13 :: v_dual_fmac_f32 v56, v52, v22
	v_dual_mul_f32 v58, v55, v15 :: v_dual_fmac_f32 v31, v120, v34
	v_fma_f32 v34, v120, v35, -v26
	v_fmac_f32_e32 v33, v68, v20
	v_fma_f32 v51, v68, v21, -v27
	s_wait_dscnt 0x2
	v_dual_fmac_f32 v58, v54, v14 :: v_dual_mul_f32 v35, v123, v17
	v_dual_mul_f32 v20, v123, v16 :: v_dual_mul_f32 v21, v53, v22
	v_dual_mul_f32 v48, v125, v67 :: v_dual_fmac_f32 v47, v70, v12
	v_mul_f32_e32 v12, v71, v12
	s_delay_alu instid0(VALU_DEP_3)
	v_fma_f32 v57, v122, v17, -v20
	s_wait_dscnt 0x1
	v_dual_sub_f32 v17, v9, v40 :: v_dual_sub_f32 v20, v80, v37
	v_fma_f32 v52, v52, v23, -v21
	v_dual_sub_f32 v21, v36, v41 :: v_dual_mul_f32 v22, v117, v18
	v_mul_f32_e32 v14, v55, v14
	v_dual_mul_f32 v40, v117, v19 :: v_dual_fmac_f32 v35, v122, v16
	v_sub_f32_e32 v16, v8, v81
	v_fma_f32 v53, v70, v13, -v12
	s_delay_alu instid0(VALU_DEP_4) | instskip(NEXT) | instid1(VALU_DEP_4)
	v_fma_f32 v41, v54, v15, -v14
	v_dual_fmac_f32 v40, v116, v18 :: v_dual_sub_f32 v15, v17, v20
	s_delay_alu instid0(VALU_DEP_4)
	v_fma_f32 v12, v8, 2.0, -v16
	v_fma_f32 v8, v80, 2.0, -v20
	v_dual_add_f32 v14, v16, v21 :: v_dual_sub_f32 v27, v11, v39
	v_sub_f32_e32 v20, v38, v42
	v_fmac_f32_e32 v48, v124, v66
	v_fma_f32 v13, v9, 2.0, -v17
	v_fma_f32 v9, v36, 2.0, -v21
	;; [unrolled: 1-line block ×4, first 2 shown]
	s_wait_dscnt 0x0
	v_dual_sub_f32 v37, v4, v46 :: v_dual_sub_f32 v38, v5, v25
	v_dual_sub_f32 v39, v43, v50 :: v_dual_sub_f32 v28, v24, v28
	v_fma_f32 v54, v116, v19, -v22
	v_dual_sub_f32 v26, v10, v45 :: v_dual_sub_f32 v19, v49, v48
	s_delay_alu instid0(VALU_DEP_4)
	v_fma_f32 v4, v4, 2.0, -v37
	v_fma_f32 v5, v5, 2.0, -v38
	;; [unrolled: 1-line block ×6, first 2 shown]
	v_dual_add_f32 v20, v26, v20 :: v_dual_sub_f32 v21, v27, v19
	s_delay_alu instid0(VALU_DEP_4) | instskip(NEXT) | instid1(VALU_DEP_3)
	v_dual_sub_f32 v22, v4, v22 :: v_dual_sub_f32 v23, v5, v23
	v_dual_sub_f32 v10, v18, v10 :: v_dual_sub_f32 v11, v36, v11
	s_delay_alu instid0(VALU_DEP_3) | instskip(NEXT) | instid1(VALU_DEP_4)
	v_fma_f32 v24, v26, 2.0, -v20
	v_fma_f32 v25, v27, 2.0, -v21
	s_delay_alu instid0(VALU_DEP_4)
	v_fma_f32 v26, v4, 2.0, -v22
	v_fma_f32 v27, v5, 2.0, -v23
	v_dual_sub_f32 v4, v6, v44 :: v_dual_sub_f32 v5, v29, v31
	v_dual_sub_f32 v42, v7, v30 :: v_dual_sub_f32 v43, v0, v47
	v_fma_f32 v19, v36, 2.0, -v11
	v_add_f32_e32 v28, v37, v28
	s_delay_alu instid0(VALU_DEP_4)
	v_fma_f32 v36, v6, 2.0, -v4
	v_fma_f32 v30, v29, 2.0, -v5
	v_sub_f32_e32 v29, v38, v39
	v_fma_f32 v39, v7, 2.0, -v42
	v_sub_f32_e32 v34, v32, v34
	v_dual_sub_f32 v44, v33, v35 :: v_dual_sub_f32 v35, v42, v5
	v_dual_sub_f32 v30, v36, v30 :: v_dual_sub_f32 v45, v51, v57
	s_delay_alu instid0(VALU_DEP_3)
	v_fma_f32 v31, v32, 2.0, -v34
	v_fma_f32 v7, v38, 2.0, -v29
	v_dual_sub_f32 v46, v1, v53 :: v_dual_sub_f32 v47, v56, v40
	v_fma_f32 v38, v0, 2.0, -v43
	v_fma_f32 v0, v33, 2.0, -v44
	v_sub_f32_e32 v31, v39, v31
	s_delay_alu instid0(VALU_DEP_4)
	v_fma_f32 v5, v1, 2.0, -v46
	v_fma_f32 v1, v51, 2.0, -v45
	v_add_f32_e32 v34, v4, v34
	v_dual_sub_f32 v0, v38, v0 :: v_dual_sub_f32 v49, v3, v41
	v_dual_sub_f32 v48, v52, v54 :: v_dual_sub_f32 v41, v46, v44
	v_fma_f32 v32, v36, 2.0, -v30
	v_sub_f32_e32 v1, v5, v1
	v_fma_f32 v36, v4, 2.0, -v34
	v_add_f32_e32 v40, v43, v45
	v_fma_f32 v51, v3, 2.0, -v49
	v_fma_f32 v45, v52, 2.0, -v48
	v_sub_f32_e32 v4, v2, v58
	v_dual_sub_f32 v8, v12, v8 :: v_dual_sub_f32 v9, v13, v9
	v_fma_f32 v3, v56, 2.0, -v47
	v_fma_f32 v16, v16, 2.0, -v14
	s_delay_alu instid0(VALU_DEP_4) | instskip(NEXT) | instid1(VALU_DEP_4)
	v_fma_f32 v50, v2, 2.0, -v4
	v_fma_f32 v12, v12, 2.0, -v8
	;; [unrolled: 1-line block ×6, first 2 shown]
	v_dual_sub_f32 v43, v51, v45 :: v_dual_add_f32 v44, v4, v48
	v_fma_f32 v6, v37, 2.0, -v28
	v_fma_f32 v33, v39, 2.0, -v31
	;; [unrolled: 1-line block ×4, first 2 shown]
	v_dual_sub_f32 v42, v50, v3 :: v_dual_add_nc_u32 v5, 0x800, v193
	v_sub_f32_e32 v45, v49, v47
	ds_store_b64 v193, v[16:17] offset:2704
	ds_store_b64 v193, v[8:9] offset:5408
	;; [unrolled: 1-line block ×3, first 2 shown]
	ds_store_2addr_b64 v193, v[12:13], v[18:19] offset1:52
	ds_store_b64 v193, v[10:11] offset:5824
	ds_store_2addr_b64 v5, v[24:25], v[6:7] offset0:134 offset1:186
	v_add_nc_u32_e32 v7, 0x1800, v193
	v_fma_f32 v48, v4, 2.0, -v44
	v_add_nc_u32_e32 v4, 0x2000, v193
	v_add_nc_u32_e32 v8, 0x400, v193
	v_fma_f32 v3, v46, 2.0, -v41
	v_add_nc_u32_e32 v6, 0xc00, v193
	v_fma_f32 v38, v38, 2.0, -v0
	v_fma_f32 v46, v50, 2.0, -v42
	;; [unrolled: 1-line block ×4, first 2 shown]
	ds_store_2addr_b64 v4, v[20:21], v[28:29] offset0:42 offset1:94
	ds_store_2addr_b64 v193, v[26:27], v[32:33] offset0:104 offset1:156
	;; [unrolled: 1-line block ×3, first 2 shown]
	ds_store_b64 v193, v[34:35] offset:9360
	ds_store_2addr_b64 v6, v[36:37], v[2:3] offset0:110 offset1:162
	ds_store_2addr_b64 v8, v[38:39], v[46:47] offset0:80 offset1:132
	ds_store_b64 v193, v[48:49] offset:4784
	ds_store_2addr_b64 v7, v[0:1], v[42:43] offset0:116 offset1:168
	ds_store_2addr_b64 v4, v[40:41], v[44:45] offset0:198 offset1:250
	s_and_saveexec_b32 s0, vcc_lo
	s_cbranch_execz .LBB0_9
; %bb.8:
	v_dual_mul_f32 v0, v75, v104 :: v_dual_mul_f32 v1, v73, v77
	v_dual_mul_f32 v2, v75, v105 :: v_dual_mul_f32 v3, v73, v76
	v_mul_f32_e32 v6, v101, v102
	v_mul_f32_e32 v9, v101, v103
	s_delay_alu instid0(VALU_DEP_4) | instskip(NEXT) | instid1(VALU_DEP_4)
	v_fma_f32 v0, v74, v105, -v0
	v_fmac_f32_e32 v2, v74, v104
	v_fmac_f32_e32 v1, v72, v76
	v_fma_f32 v3, v72, v77, -v3
	v_fma_f32 v6, v100, v103, -v6
	v_dual_fmac_f32 v9, v100, v102 :: v_dual_sub_f32 v10, v79, v0
	s_delay_alu instid0(VALU_DEP_2) | instskip(SKIP_1) | instid1(VALU_DEP_3)
	v_sub_f32_e32 v0, v3, v6
	v_sub_f32_e32 v6, v78, v2
	;; [unrolled: 1-line block ×3, first 2 shown]
	s_delay_alu instid0(VALU_DEP_4) | instskip(NEXT) | instid1(VALU_DEP_4)
	v_fma_f32 v9, v79, 2.0, -v10
	v_fma_f32 v3, v3, 2.0, -v0
	s_delay_alu instid0(VALU_DEP_4) | instskip(NEXT) | instid1(VALU_DEP_4)
	v_fma_f32 v11, v78, 2.0, -v6
	v_fma_f32 v12, v1, 2.0, -v2
	v_sub_f32_e32 v1, v10, v2
	s_delay_alu instid0(VALU_DEP_4) | instskip(NEXT) | instid1(VALU_DEP_3)
	v_dual_sub_f32 v3, v9, v3 :: v_dual_add_f32 v0, v6, v0
	v_sub_f32_e32 v2, v11, v12
	s_delay_alu instid0(VALU_DEP_3) | instskip(NEXT) | instid1(VALU_DEP_3)
	v_fma_f32 v10, v10, 2.0, -v1
	v_fma_f32 v12, v9, 2.0, -v3
	s_delay_alu instid0(VALU_DEP_4) | instskip(NEXT) | instid1(VALU_DEP_4)
	v_fma_f32 v9, v6, 2.0, -v0
	v_fma_f32 v11, v11, 2.0, -v2
	ds_store_b64 v193, v[11:12] offset:2496
	ds_store_b64 v193, v[9:10] offset:5200
	;; [unrolled: 1-line block ×4, first 2 shown]
.LBB0_9:
	s_wait_alu 0xfffe
	s_or_b32 exec_lo, exec_lo, s0
	global_wb scope:SCOPE_SE
	s_wait_dscnt 0x0
	s_barrier_signal -1
	s_barrier_wait -1
	global_inv scope:SCOPE_SE
	s_clause 0x1
	scratch_load_b64 v[13:14], off, off th:TH_LOAD_LU
	scratch_load_b32 v45, off, off offset:8 th:TH_LOAD_LU
	v_add_nc_u32_e32 v6, 0x1000, v193
	ds_load_2addr_b64 v[9:12], v193 offset1:52
	s_mov_b32 s2, 0x7ab2bedd
	s_mov_b32 s3, 0x3f483c97
	s_mul_u64 s[0:1], s[4:5], 0x1520
	s_movk_i32 s8, 0xec80
	s_mov_b32 s9, -1
	s_wait_loadcnt 0x1
	v_mov_b32_e32 v43, v13
	ds_load_2addr_b64 v[0:3], v6 offset0:112 offset1:164
	ds_load_2addr_b64 v[13:16], v193 offset0:104 offset1:156
	;; [unrolled: 1-line block ×3, first 2 shown]
	s_clause 0x1
	scratch_load_b64 v[36:37], off, off offset:20 th:TH_LOAD_LU
	scratch_load_b64 v[54:55], off, off offset:36 th:TH_LOAD_LU
	v_mad_co_u64_u32 v[29:30], null, s6, v43, 0
	s_clause 0x1
	scratch_load_b64 v[34:35], off, off offset:12 th:TH_LOAD_LU
	scratch_load_b64 v[47:48], off, off offset:128 th:TH_LOAD_LU
	s_wait_loadcnt 0x4
	v_mad_co_u64_u32 v[31:32], null, s4, v45, 0
	scratch_load_b64 v[59:60], off, off offset:120 th:TH_LOAD_LU ; 8-byte Folded Reload
	s_wait_dscnt 0x0
	v_dual_mul_f32 v53, v174, v18 :: v_dual_mul_f32 v56, v176, v20
	s_delay_alu instid0(VALU_DEP_1)
	v_dual_fmac_f32 v53, v173, v17 :: v_dual_fmac_f32 v56, v175, v19
	s_wait_loadcnt 0x4
	v_mul_f32_e32 v25, v37, v10
	v_mul_f32_e32 v26, v37, v9
	scratch_load_b64 v[37:38], off, off offset:44 th:TH_LOAD_LU ; 8-byte Folded Reload
	v_add_nc_u32_e32 v21, 0x1400, v193
	s_wait_loadcnt 0x3
	v_mul_f32_e32 v33, v35, v2
	s_wait_loadcnt 0x0
	v_mul_f32_e32 v27, v38, v12
	v_mul_f32_e32 v28, v38, v11
	ds_load_2addr_b64 v[21:24], v21 offset0:88 offset1:140
	v_fma_f32 v10, v36, v10, -v26
	v_fmac_f32_e32 v27, v37, v11
	v_fma_f32 v11, v37, v12, -v28
	v_fma_f32 v12, v34, v3, -v33
	s_delay_alu instid0(VALU_DEP_2) | instskip(NEXT) | instid1(VALU_DEP_2)
	v_cvt_f64_f32_e32 v[41:42], v11
	v_cvt_f64_f32_e32 v[39:40], v12
	v_mov_b32_e32 v12, v30
	v_mov_b32_e32 v30, v32
	s_delay_alu instid0(VALU_DEP_2) | instskip(NEXT) | instid1(VALU_DEP_2)
	v_mad_co_u64_u32 v[43:44], null, s7, v43, v[12:13]
	v_mad_co_u64_u32 v[44:45], null, s5, v45, v[30:31]
	scratch_load_b64 v[45:46], off, off offset:28 th:TH_LOAD_LU ; 8-byte Folded Reload
	v_fmac_f32_e32 v25, v36, v9
	v_dual_mul_f32 v9, v35, v3 :: v_dual_mul_f32 v12, v48, v13
	s_wait_dscnt 0x0
	v_dual_mul_f32 v52, v60, v15 :: v_dual_mul_f32 v49, v55, v24
	s_wait_alu 0xfffe
	s_mul_u64 s[6:7], s[4:5], s[8:9]
	v_fmac_f32_e32 v9, v34, v2
	v_cvt_f64_f32_e32 v[33:34], v10
	v_mul_f32_e32 v50, v55, v23
	s_delay_alu instid0(VALU_DEP_3)
	v_cvt_f64_f32_e32 v[37:38], v9
	ds_load_2addr_b64 v[8:11], v8 offset0:80 offset1:132
	v_mul_f64_e32 v[41:42], s[2:3], v[41:42]
	v_mul_f64_e32 v[39:40], s[2:3], v[39:40]
	s_wait_dscnt 0x0
	v_dual_mul_f32 v55, v178, v8 :: v_dual_mul_f32 v58, v180, v10
	s_delay_alu instid0(VALU_DEP_1)
	v_fma_f32 v58, v179, v11, -v58
	v_mul_f64_e32 v[33:34], s[2:3], v[33:34]
	v_mul_f64_e32 v[37:38], s[2:3], v[37:38]
	s_wait_loadcnt 0x0
	v_mul_f32_e32 v30, v46, v22
	v_cvt_f64_f32_e32 v[2:3], v25
	v_mul_f32_e32 v32, v46, v21
	v_cvt_f64_f32_e32 v[35:36], v27
	ds_load_2addr_b64 v[25:28], v7 offset0:168 offset1:220
	v_mul_f32_e32 v7, v48, v14
	v_fma_f32 v14, v47, v14, -v12
	v_dual_mul_f32 v51, v60, v16 :: v_dual_fmac_f32 v30, v45, v21
	v_fma_f32 v32, v45, v22, -v32
	s_delay_alu instid0(VALU_DEP_4) | instskip(NEXT) | instid1(VALU_DEP_4)
	v_fmac_f32_e32 v7, v47, v13
	v_cvt_f64_f32_e32 v[21:22], v14
	v_mul_f32_e32 v14, v174, v17
	v_fmac_f32_e32 v49, v54, v23
	v_cvt_f64_f32_e32 v[45:46], v30
	v_mov_b32_e32 v30, v43
	v_cvt_f64_f32_e32 v[12:13], v7
	v_fma_f32 v7, v54, v24, -v50
	v_cvt_f64_f32_e32 v[47:48], v32
	v_cvt_f64_f32_e32 v[23:24], v49
	v_mul_f32_e32 v54, v178, v9
	v_fma_f32 v43, v173, v18, -v14
	v_cvt_f64_f32_e32 v[49:50], v7
	v_mul_f32_e32 v7, v176, v19
	s_delay_alu instid0(VALU_DEP_4)
	v_dual_mul_f32 v57, v180, v11 :: v_dual_fmac_f32 v54, v177, v8
	v_mov_b32_e32 v32, v44
	v_fma_f32 v16, v59, v16, -v52
	v_fma_f32 v52, v177, v9, -v55
	;; [unrolled: 1-line block ×3, first 2 shown]
	v_lshlrev_b64_e32 v[7:8], 3, v[29:30]
	v_cvt_f64_f32_e32 v[29:30], v43
	v_fmac_f32_e32 v57, v179, v10
	v_lshlrev_b64_e32 v[9:10], 3, v[31:32]
	v_fmac_f32_e32 v51, v59, v15
	v_cvt_f64_f32_e32 v[18:19], v53
	v_add_co_u32 v61, vcc_lo, s12, v7
	s_wait_alu 0xfffd
	v_add_co_ci_u32_e32 v62, vcc_lo, s13, v8, vcc_lo
	v_mul_f64_e32 v[2:3], s[2:3], v[2:3]
	v_mul_f64_e32 v[35:36], s[2:3], v[35:36]
	v_cvt_f64_f32_e32 v[16:17], v16
	v_mul_f64_e32 v[20:21], s[2:3], v[21:22]
	v_mul_f64_e32 v[31:32], s[2:3], v[45:46]
	v_cvt_f64_f32_e32 v[45:46], v55
	v_mul_f64_e32 v[11:12], s[2:3], v[12:13]
	v_mul_f64_e32 v[43:44], s[2:3], v[47:48]
	;; [unrolled: 1-line block ×3, first 2 shown]
	s_wait_dscnt 0x0
	v_mul_f32_e32 v24, v172, v25
	v_cvt_f64_f32_e32 v[14:15], v51
	v_mul_f64_e32 v[47:48], s[2:3], v[49:50]
	v_add_co_u32 v51, vcc_lo, v61, v9
	v_cvt_f64_f32_e32 v[49:50], v57
	v_mul_f64_e32 v[29:30], s[2:3], v[29:30]
	v_cvt_f32_f64_e32 v2, v[2:3]
	v_cvt_f32_f64_e32 v3, v[33:34]
	;; [unrolled: 1-line block ×6, first 2 shown]
	v_cvt_f64_f32_e32 v[39:40], v52
	s_wait_alu 0xfffd
	v_add_co_ci_u32_e32 v52, vcc_lo, v62, v10, vcc_lo
	v_add_co_u32 v55, vcc_lo, v51, s0
	v_cvt_f64_f32_e32 v[41:42], v56
	s_wait_alu 0xfffd
	s_delay_alu instid0(VALU_DEP_3)
	v_add_co_ci_u32_e32 v56, vcc_lo, s1, v52, vcc_lo
	s_wait_alu 0xfffe
	v_add_co_u32 v57, vcc_lo, v55, s6
	v_cvt_f64_f32_e32 v[37:38], v54
	v_cvt_f64_f32_e32 v[53:54], v58
	s_wait_alu 0xfffd
	v_add_co_ci_u32_e32 v58, vcc_lo, s7, v56, vcc_lo
	ds_load_2addr_b64 v[7:10], v5 offset0:56 offset1:108
	v_cvt_f32_f64_e32 v22, v[22:23]
	s_clause 0x2
	global_store_b64 v[51:52], v[2:3], off
	global_store_b64 v[55:56], v[35:36], off
	;; [unrolled: 1-line block ×3, first 2 shown]
	v_cvt_f32_f64_e32 v23, v[47:48]
	scratch_load_b64 v[47:48], off, off offset:160 th:TH_LOAD_LU ; 8-byte Folded Reload
	v_mul_f64_e32 v[13:14], s[2:3], v[14:15]
	v_mul_f64_e32 v[15:16], s[2:3], v[16:17]
	;; [unrolled: 1-line block ×3, first 2 shown]
	v_mul_f32_e32 v19, v172, v26
	v_fma_f32 v26, v171, v26, -v24
	v_cvt_f32_f64_e32 v11, v[11:12]
	v_cvt_f32_f64_e32 v12, v[20:21]
	;; [unrolled: 1-line block ×3, first 2 shown]
	v_fmac_f32_e32 v19, v171, v25
	v_cvt_f64_f32_e32 v[43:44], v26
	scratch_load_b64 v[51:52], off, off offset:168 th:TH_LOAD_LU ; 8-byte Folded Reload
	v_mul_f64_e32 v[35:36], s[2:3], v[41:42]
	v_cvt_f32_f64_e32 v20, v[31:32]
	v_cvt_f64_f32_e32 v[41:42], v19
	v_mul_f64_e32 v[24:25], s[2:3], v[49:50]
	v_mul_f64_e32 v[31:32], s[2:3], v[37:38]
	;; [unrolled: 1-line block ×3, first 2 shown]
	v_add_co_u32 v59, vcc_lo, v57, s0
	s_wait_alu 0xfffd
	v_add_co_ci_u32_e32 v60, vcc_lo, s1, v58, vcc_lo
	v_mul_f64_e32 v[33:34], s[2:3], v[39:40]
	s_delay_alu instid0(VALU_DEP_3) | instskip(SKIP_1) | instid1(VALU_DEP_3)
	v_add_co_u32 v2, vcc_lo, v59, s6
	s_wait_alu 0xfffd
	v_add_co_ci_u32_e32 v3, vcc_lo, s7, v60, vcc_lo
	v_mul_f64_e32 v[39:40], s[2:3], v[53:54]
	v_cvt_f32_f64_e32 v13, v[13:14]
	v_cvt_f32_f64_e32 v14, v[15:16]
	;; [unrolled: 1-line block ×4, first 2 shown]
	v_add_co_u32 v15, vcc_lo, v2, s0
	s_wait_alu 0xfffd
	v_add_co_ci_u32_e32 v16, vcc_lo, s1, v3, vcc_lo
	s_delay_alu instid0(VALU_DEP_2) | instskip(SKIP_1) | instid1(VALU_DEP_2)
	v_add_co_u32 v53, vcc_lo, v15, s6
	s_wait_alu 0xfffd
	v_add_co_ci_u32_e32 v54, vcc_lo, s7, v16, vcc_lo
	v_cvt_f32_f64_e32 v24, v[24:25]
	v_cvt_f32_f64_e32 v30, v[33:34]
	;; [unrolled: 1-line block ×4, first 2 shown]
	v_mul_f64_e32 v[37:38], s[2:3], v[43:44]
	v_mul_f64_e32 v[35:36], s[2:3], v[41:42]
	v_cvt_f32_f64_e32 v25, v[39:40]
	s_wait_loadcnt 0x1
	v_mul_f32_e32 v26, v48, v27
	v_mul_f32_e32 v19, v48, v28
	s_delay_alu instid0(VALU_DEP_2) | instskip(NEXT) | instid1(VALU_DEP_2)
	v_fma_f32 v28, v47, v28, -v26
	v_fmac_f32_e32 v19, v47, v27
	s_delay_alu instid0(VALU_DEP_2)
	v_cvt_f64_f32_e32 v[47:48], v28
	scratch_load_b32 v28, off, off offset:60 th:TH_LOAD_LU ; 4-byte Folded Reload
	s_wait_loadcnt_dscnt 0x100
	v_mul_f32_e32 v49, v52, v10
	v_dual_mul_f32 v45, v170, v8 :: v_dual_mul_f32 v50, v52, v9
	v_cvt_f64_f32_e32 v[26:27], v19
	s_clause 0x1
	global_store_b64 v[59:60], v[20:21], off
	global_store_b64 v[2:3], v[11:12], off
	;; [unrolled: 1-line block ×3, first 2 shown]
	v_fmac_f32_e32 v49, v51, v9
	v_fmac_f32_e32 v45, v169, v7
	v_fma_f32 v19, v51, v10, -v50
	global_store_b64 v[53:54], v[13:14], off
	v_cvt_f32_f64_e32 v23, v[35:36]
	v_cvt_f64_f32_e32 v[9:10], v49
	v_cvt_f64_f32_e32 v[45:46], v45
	;; [unrolled: 1-line block ×3, first 2 shown]
	v_mul_f64_e32 v[21:22], s[2:3], v[47:48]
	s_delay_alu instid0(VALU_DEP_3) | instskip(NEXT) | instid1(VALU_DEP_3)
	v_mul_f64_e32 v[2:3], s[2:3], v[45:46]
	v_mul_f64_e32 v[39:40], s[2:3], v[51:52]
	s_wait_loadcnt 0x0
	v_mad_co_u64_u32 v[49:50], null, s4, v28, 0
	s_delay_alu instid0(VALU_DEP_1) | instskip(NEXT) | instid1(VALU_DEP_1)
	v_mov_b32_e32 v19, v50
	v_mad_co_u64_u32 v[28:29], null, s5, v28, v[19:20]
	v_cvt_f32_f64_e32 v29, v[31:32]
	v_mad_co_u64_u32 v[31:32], null, 0x1a0, s4, v[53:54]
	v_mul_f64_e32 v[19:20], s[2:3], v[26:27]
	v_mul_f64_e32 v[26:27], s[2:3], v[9:10]
	v_mov_b32_e32 v50, v28
	s_delay_alu instid0(VALU_DEP_1) | instskip(NEXT) | instid1(VALU_DEP_1)
	v_lshlrev_b64_e32 v[11:12], 3, v[49:50]
	v_add_co_u32 v11, vcc_lo, v61, v11
	s_wait_alu 0xfffd
	s_delay_alu instid0(VALU_DEP_2) | instskip(SKIP_4) | instid1(VALU_DEP_1)
	v_add_co_ci_u32_e32 v12, vcc_lo, v62, v12, vcc_lo
	v_add_co_u32 v41, vcc_lo, v31, s0
	global_store_b64 v[11:12], v[17:18], off
	ds_load_2addr_b64 v[11:14], v5 offset0:160 offset1:212
	v_mul_f32_e32 v7, v170, v7
	v_fma_f32 v7, v169, v8, -v7
	s_delay_alu instid0(VALU_DEP_1)
	v_cvt_f64_f32_e32 v[7:8], v7
	v_cvt_f32_f64_e32 v19, v[19:20]
	v_cvt_f32_f64_e32 v20, v[21:22]
	;; [unrolled: 1-line block ×4, first 2 shown]
	v_mul_f64_e32 v[15:16], s[2:3], v[7:8]
	v_mov_b32_e32 v7, v32
	s_delay_alu instid0(VALU_DEP_1) | instskip(NEXT) | instid1(VALU_DEP_1)
	v_mad_co_u64_u32 v[7:8], null, 0x1a0, s5, v[7:8]
	v_mov_b32_e32 v32, v7
	ds_load_2addr_b64 v[7:10], v4 offset0:16 offset1:68
	s_wait_alu 0xfffd
	v_add_co_ci_u32_e32 v42, vcc_lo, s1, v32, vcc_lo
	v_add_co_u32 v17, vcc_lo, v41, s6
	s_wait_alu 0xfffd
	s_delay_alu instid0(VALU_DEP_2) | instskip(NEXT) | instid1(VALU_DEP_2)
	v_add_co_ci_u32_e32 v18, vcc_lo, s7, v42, vcc_lo
	v_add_co_u32 v28, vcc_lo, v17, s0
	global_store_b64 v[31:32], v[29:30], off
	global_store_b64 v[41:42], v[33:34], off
	;; [unrolled: 1-line block ×3, first 2 shown]
	s_wait_alu 0xfffd
	v_add_co_ci_u32_e32 v29, vcc_lo, s1, v18, vcc_lo
	scratch_load_b64 v[17:18], off, off offset:152 th:TH_LOAD_LU ; 8-byte Folded Reload
	v_cvt_f32_f64_e32 v24, v[37:38]
	s_clause 0x4
	scratch_load_b64 v[36:37], off, off offset:136 th:TH_LOAD_LU
	scratch_load_b64 v[38:39], off, off offset:144 th:TH_LOAD_LU
	;; [unrolled: 1-line block ×5, first 2 shown]
	v_cvt_f32_f64_e32 v30, v[2:3]
	v_cvt_f32_f64_e32 v31, v[15:16]
	scratch_load_b64 v[54:55], off, off offset:52 th:TH_LOAD_LU ; 8-byte Folded Reload
	s_wait_loadcnt_dscnt 0x600
	v_mul_f32_e32 v2, v18, v8
	v_mul_f32_e32 v3, v18, v7
	s_delay_alu instid0(VALU_DEP_2) | instskip(NEXT) | instid1(VALU_DEP_2)
	v_fmac_f32_e32 v2, v17, v7
	v_fma_f32 v7, v17, v8, -v3
	ds_load_2addr_b64 v[15:18], v6 offset0:8 offset1:60
	s_wait_loadcnt 0x3
	v_dual_mul_f32 v27, v48, v14 :: v_dual_mul_f32 v6, v39, v11
	v_cvt_f64_f32_e32 v[25:26], v2
	ds_load_2addr_b64 v[2:5], v4 offset0:120 offset1:172
	v_mul_f32_e32 v8, v39, v12
	v_fmac_f32_e32 v27, v47, v13
	v_fma_f32 v6, v38, v12, -v6
	v_mul_f32_e32 v12, v48, v13
	scratch_load_b64 v[48:49], off, off offset:64 th:TH_LOAD_LU ; 8-byte Folded Reload
	v_cvt_f64_f32_e32 v[32:33], v7
	v_cvt_f64_f32_e32 v[40:41], v27
	v_fmac_f32_e32 v8, v38, v11
	v_fma_f32 v12, v47, v14, -v12
	s_delay_alu instid0(VALU_DEP_2)
	v_cvt_f64_f32_e32 v[34:35], v8
	s_wait_loadcnt_dscnt 0x300
	v_mul_f32_e32 v13, v45, v3
	v_mul_f32_e32 v27, v45, v2
	scratch_load_b64 v[45:46], off, off offset:104 th:TH_LOAD_LU ; 8-byte Folded Reload
	v_fmac_f32_e32 v13, v44, v2
	v_fma_f32 v14, v44, v3, -v27
	v_cvt_f64_f32_e32 v[2:3], v12
	v_mul_f64_e32 v[25:26], s[2:3], v[25:26]
	v_mul_f64_e32 v[32:33], s[2:3], v[32:33]
	;; [unrolled: 1-line block ×5, first 2 shown]
	s_wait_loadcnt 0x1
	v_mul_f32_e32 v27, v49, v4
	s_delay_alu instid0(VALU_DEP_1) | instskip(SKIP_3) | instid1(VALU_DEP_2)
	v_fma_f32 v27, v48, v5, -v27
	s_wait_loadcnt 0x0
	v_mul_f32_e32 v43, v46, v15
	v_mul_f32_e32 v42, v46, v16
	v_fma_f32 v16, v45, v16, -v43
	s_delay_alu instid0(VALU_DEP_2) | instskip(SKIP_1) | instid1(VALU_DEP_3)
	v_fmac_f32_e32 v42, v45, v15
	v_cvt_f64_f32_e32 v[14:15], v14
	v_cvt_f64_f32_e32 v[44:45], v16
	v_mul_f32_e32 v16, v49, v5
	scratch_load_b64 v[49:50], off, off offset:88 th:TH_LOAD_LU ; 8-byte Folded Reload
	v_cvt_f64_f32_e32 v[42:43], v42
	v_fmac_f32_e32 v16, v48, v4
	s_delay_alu instid0(VALU_DEP_1) | instskip(SKIP_1) | instid1(VALU_DEP_2)
	v_cvt_f64_f32_e32 v[4:5], v16
	v_mul_f64_e32 v[14:15], s[2:3], v[14:15]
	v_mul_f64_e32 v[4:5], s[2:3], v[4:5]
	s_delay_alu instid0(VALU_DEP_1) | instskip(SKIP_3) | instid1(VALU_DEP_2)
	v_cvt_f32_f64_e32 v4, v[4:5]
	s_wait_loadcnt 0x0
	v_mul_f32_e32 v47, v50, v17
	v_mul_f32_e32 v46, v50, v18
	v_fma_f32 v18, v49, v18, -v47
	s_delay_alu instid0(VALU_DEP_2) | instskip(SKIP_2) | instid1(VALU_DEP_4)
	v_fmac_f32_e32 v46, v49, v17
	v_cvt_f64_f32_e32 v[16:17], v27
	v_mul_f32_e32 v27, v55, v0
	v_cvt_f64_f32_e32 v[48:49], v18
	v_mul_f32_e32 v18, v55, v1
	scratch_load_b64 v[55:56], off, off offset:80 th:TH_LOAD_LU ; 8-byte Folded Reload
	v_mul_f32_e32 v7, v37, v10
	v_mul_f32_e32 v11, v37, v9
	v_fma_f32 v27, v54, v1, -v27
	v_fmac_f32_e32 v18, v54, v0
	v_cvt_f64_f32_e32 v[12:13], v13
	v_fmac_f32_e32 v7, v36, v9
	v_fma_f32 v8, v36, v10, -v11
	v_add_nc_u32_e32 v9, 0x2400, v193
	v_cvt_f64_f32_e32 v[10:11], v6
	v_cvt_f64_f32_e32 v[46:47], v46
	;; [unrolled: 1-line block ×4, first 2 shown]
	ds_load_2addr_b64 v[6:9], v9 offset0:96 offset1:148
	s_wait_dscnt 0x0
	v_mul_f32_e32 v50, v58, v7
	v_mul_f64_e32 v[16:17], s[2:3], v[16:17]
	s_delay_alu instid0(VALU_DEP_2) | instskip(SKIP_1) | instid1(VALU_DEP_2)
	v_fmac_f32_e32 v50, v57, v6
	v_mul_f32_e32 v6, v58, v6
	v_cvt_f64_f32_e32 v[50:51], v50
	s_delay_alu instid0(VALU_DEP_2) | instskip(SKIP_2) | instid1(VALU_DEP_3)
	v_fma_f32 v6, v57, v7, -v6
	v_mul_f64_e32 v[12:13], s[2:3], v[12:13]
	v_mul_f64_e32 v[10:11], s[2:3], v[10:11]
	v_cvt_f64_f32_e32 v[0:1], v6
	v_cvt_f64_f32_e32 v[6:7], v18
	v_mul_f64_e32 v[36:37], s[2:3], v[36:37]
	v_mul_f64_e32 v[38:39], s[2:3], v[38:39]
	v_cvt_f32_f64_e32 v5, v[16:17]
	v_mul_f64_e32 v[0:1], s[2:3], v[0:1]
	v_mul_f64_e32 v[6:7], s[2:3], v[6:7]
	s_wait_loadcnt 0x0
	v_mul_f32_e32 v52, v56, v9
	v_mul_f32_e32 v53, v56, v8
	v_add_co_u32 v56, vcc_lo, v28, s6
	s_wait_alu 0xfffd
	v_add_co_ci_u32_e32 v57, vcc_lo, s7, v29, vcc_lo
	v_fmac_f32_e32 v52, v55, v8
	v_fma_f32 v54, v55, v9, -v53
	v_cvt_f64_f32_e32 v[8:9], v27
	v_add_co_u32 v58, vcc_lo, v56, s0
	s_delay_alu instid0(VALU_DEP_4) | instskip(NEXT) | instid1(VALU_DEP_4)
	v_cvt_f64_f32_e32 v[52:53], v52
	v_cvt_f64_f32_e32 v[54:55], v54
	s_wait_alu 0xfffd
	v_add_co_ci_u32_e32 v59, vcc_lo, s1, v57, vcc_lo
	v_add_co_u32 v60, vcc_lo, v58, s6
	s_wait_alu 0xfffd
	s_delay_alu instid0(VALU_DEP_2)
	v_add_co_ci_u32_e32 v61, vcc_lo, s7, v59, vcc_lo
	global_store_b64 v[28:29], v[23:24], off
	global_store_b64 v[56:57], v[30:31], off
	;; [unrolled: 1-line block ×4, first 2 shown]
	v_mul_f64_e32 v[18:19], s[2:3], v[42:43]
	v_mul_f64_e32 v[20:21], s[2:3], v[44:45]
	;; [unrolled: 1-line block ×5, first 2 shown]
	v_cvt_f32_f64_e32 v24, v[25:26]
	v_cvt_f32_f64_e32 v25, v[32:33]
	;; [unrolled: 1-line block ×4, first 2 shown]
	v_add_co_u32 v31, vcc_lo, v60, s0
	s_wait_alu 0xfffd
	v_add_co_ci_u32_e32 v32, vcc_lo, s1, v61, vcc_lo
	v_cvt_f32_f64_e32 v35, v[36:37]
	v_cvt_f32_f64_e32 v36, v[38:39]
	;; [unrolled: 1-line block ×4, first 2 shown]
	v_add_co_u32 v10, vcc_lo, v31, s6
	s_wait_alu 0xfffd
	v_add_co_ci_u32_e32 v11, vcc_lo, s7, v32, vcc_lo
	v_cvt_f32_f64_e32 v2, v[12:13]
	v_cvt_f32_f64_e32 v3, v[14:15]
	v_add_co_u32 v37, vcc_lo, v10, s0
	v_mul_f64_e32 v[8:9], s[2:3], v[8:9]
	s_wait_alu 0xfffd
	v_add_co_ci_u32_e32 v38, vcc_lo, s1, v11, vcc_lo
	v_mul_f64_e32 v[42:43], s[2:3], v[52:53]
	v_mul_f64_e32 v[44:45], s[2:3], v[54:55]
	v_add_co_u32 v12, vcc_lo, v37, s6
	s_wait_alu 0xfffd
	v_add_co_ci_u32_e32 v13, vcc_lo, s7, v38, vcc_lo
	v_cvt_f32_f64_e32 v14, v[18:19]
	v_cvt_f32_f64_e32 v15, v[20:21]
	;; [unrolled: 1-line block ×7, first 2 shown]
	global_store_b64 v[31:32], v[24:25], off
	global_store_b64 v[10:11], v[33:34], off
	global_store_b64 v[37:38], v[35:36], off
	global_store_b64 v[12:13], v[39:40], off
	v_cvt_f32_f64_e32 v1, v[8:9]
	v_add_co_u32 v8, vcc_lo, v12, s0
	v_cvt_f32_f64_e32 v6, v[42:43]
	v_cvt_f32_f64_e32 v7, v[44:45]
	s_wait_alu 0xfffd
	v_add_co_ci_u32_e32 v9, vcc_lo, s1, v13, vcc_lo
	v_add_co_u32 v20, vcc_lo, v8, s6
	s_wait_alu 0xfffd
	s_delay_alu instid0(VALU_DEP_2) | instskip(NEXT) | instid1(VALU_DEP_2)
	v_add_co_ci_u32_e32 v21, vcc_lo, s7, v9, vcc_lo
	v_add_co_u32 v10, vcc_lo, v20, s0
	global_store_b64 v[8:9], v[2:3], off
	s_wait_alu 0xfffd
	v_add_co_ci_u32_e32 v11, vcc_lo, s1, v21, vcc_lo
	v_add_co_u32 v22, vcc_lo, v10, s6
	global_store_b64 v[20:21], v[14:15], off
	s_wait_alu 0xfffd
	v_add_co_ci_u32_e32 v23, vcc_lo, s7, v11, vcc_lo
	v_add_co_u32 v12, vcc_lo, v22, s0
	s_wait_alu 0xfffd
	s_delay_alu instid0(VALU_DEP_2) | instskip(NEXT) | instid1(VALU_DEP_2)
	v_add_co_ci_u32_e32 v13, vcc_lo, s1, v23, vcc_lo
	v_add_co_u32 v2, vcc_lo, v12, s6
	s_wait_alu 0xfffd
	s_delay_alu instid0(VALU_DEP_2) | instskip(NEXT) | instid1(VALU_DEP_2)
	v_add_co_ci_u32_e32 v3, vcc_lo, s7, v13, vcc_lo
	v_add_co_u32 v8, vcc_lo, v2, s0
	s_wait_alu 0xfffd
	s_delay_alu instid0(VALU_DEP_2)
	v_add_co_ci_u32_e32 v9, vcc_lo, s1, v3, vcc_lo
	global_store_b64 v[10:11], v[4:5], off
	global_store_b64 v[22:23], v[16:17], off
	;; [unrolled: 1-line block ×5, first 2 shown]
.LBB0_10:
	s_nop 0
	s_sendmsg sendmsg(MSG_DEALLOC_VGPRS)
	s_endpgm
	.section	.rodata,"a",@progbits
	.p2align	6, 0x0
	.amdhsa_kernel bluestein_single_back_len1352_dim1_sp_op_CI_CI
		.amdhsa_group_segment_fixed_size 10816
		.amdhsa_private_segment_fixed_size 180
		.amdhsa_kernarg_size 104
		.amdhsa_user_sgpr_count 2
		.amdhsa_user_sgpr_dispatch_ptr 0
		.amdhsa_user_sgpr_queue_ptr 0
		.amdhsa_user_sgpr_kernarg_segment_ptr 1
		.amdhsa_user_sgpr_dispatch_id 0
		.amdhsa_user_sgpr_private_segment_size 0
		.amdhsa_wavefront_size32 1
		.amdhsa_uses_dynamic_stack 0
		.amdhsa_enable_private_segment 1
		.amdhsa_system_sgpr_workgroup_id_x 1
		.amdhsa_system_sgpr_workgroup_id_y 0
		.amdhsa_system_sgpr_workgroup_id_z 0
		.amdhsa_system_sgpr_workgroup_info 0
		.amdhsa_system_vgpr_workitem_id 0
		.amdhsa_next_free_vgpr 256
		.amdhsa_next_free_sgpr 20
		.amdhsa_reserve_vcc 1
		.amdhsa_float_round_mode_32 0
		.amdhsa_float_round_mode_16_64 0
		.amdhsa_float_denorm_mode_32 3
		.amdhsa_float_denorm_mode_16_64 3
		.amdhsa_fp16_overflow 0
		.amdhsa_workgroup_processor_mode 1
		.amdhsa_memory_ordered 1
		.amdhsa_forward_progress 0
		.amdhsa_round_robin_scheduling 0
		.amdhsa_exception_fp_ieee_invalid_op 0
		.amdhsa_exception_fp_denorm_src 0
		.amdhsa_exception_fp_ieee_div_zero 0
		.amdhsa_exception_fp_ieee_overflow 0
		.amdhsa_exception_fp_ieee_underflow 0
		.amdhsa_exception_fp_ieee_inexact 0
		.amdhsa_exception_int_div_zero 0
	.end_amdhsa_kernel
	.text
.Lfunc_end0:
	.size	bluestein_single_back_len1352_dim1_sp_op_CI_CI, .Lfunc_end0-bluestein_single_back_len1352_dim1_sp_op_CI_CI
                                        ; -- End function
	.section	.AMDGPU.csdata,"",@progbits
; Kernel info:
; codeLenInByte = 40008
; NumSgprs: 22
; NumVgprs: 256
; ScratchSize: 180
; MemoryBound: 0
; FloatMode: 240
; IeeeMode: 1
; LDSByteSize: 10816 bytes/workgroup (compile time only)
; SGPRBlocks: 2
; VGPRBlocks: 31
; NumSGPRsForWavesPerEU: 22
; NumVGPRsForWavesPerEU: 256
; Occupancy: 5
; WaveLimiterHint : 1
; COMPUTE_PGM_RSRC2:SCRATCH_EN: 1
; COMPUTE_PGM_RSRC2:USER_SGPR: 2
; COMPUTE_PGM_RSRC2:TRAP_HANDLER: 0
; COMPUTE_PGM_RSRC2:TGID_X_EN: 1
; COMPUTE_PGM_RSRC2:TGID_Y_EN: 0
; COMPUTE_PGM_RSRC2:TGID_Z_EN: 0
; COMPUTE_PGM_RSRC2:TIDIG_COMP_CNT: 0
	.text
	.p2alignl 7, 3214868480
	.fill 96, 4, 3214868480
	.type	__hip_cuid_88f5e9fb9a19f7c2,@object ; @__hip_cuid_88f5e9fb9a19f7c2
	.section	.bss,"aw",@nobits
	.globl	__hip_cuid_88f5e9fb9a19f7c2
__hip_cuid_88f5e9fb9a19f7c2:
	.byte	0                               ; 0x0
	.size	__hip_cuid_88f5e9fb9a19f7c2, 1

	.ident	"AMD clang version 19.0.0git (https://github.com/RadeonOpenCompute/llvm-project roc-6.4.0 25133 c7fe45cf4b819c5991fe208aaa96edf142730f1d)"
	.section	".note.GNU-stack","",@progbits
	.addrsig
	.addrsig_sym __hip_cuid_88f5e9fb9a19f7c2
	.amdgpu_metadata
---
amdhsa.kernels:
  - .args:
      - .actual_access:  read_only
        .address_space:  global
        .offset:         0
        .size:           8
        .value_kind:     global_buffer
      - .actual_access:  read_only
        .address_space:  global
        .offset:         8
        .size:           8
        .value_kind:     global_buffer
      - .actual_access:  read_only
        .address_space:  global
        .offset:         16
        .size:           8
        .value_kind:     global_buffer
      - .actual_access:  read_only
        .address_space:  global
        .offset:         24
        .size:           8
        .value_kind:     global_buffer
      - .actual_access:  read_only
        .address_space:  global
        .offset:         32
        .size:           8
        .value_kind:     global_buffer
      - .offset:         40
        .size:           8
        .value_kind:     by_value
      - .address_space:  global
        .offset:         48
        .size:           8
        .value_kind:     global_buffer
      - .address_space:  global
        .offset:         56
        .size:           8
        .value_kind:     global_buffer
      - .address_space:  global
        .offset:         64
        .size:           8
        .value_kind:     global_buffer
      - .address_space:  global
        .offset:         72
        .size:           8
        .value_kind:     global_buffer
      - .offset:         80
        .size:           4
        .value_kind:     by_value
      - .address_space:  global
        .offset:         88
        .size:           8
        .value_kind:     global_buffer
      - .address_space:  global
        .offset:         96
        .size:           8
        .value_kind:     global_buffer
    .group_segment_fixed_size: 10816
    .kernarg_segment_align: 8
    .kernarg_segment_size: 104
    .language:       OpenCL C
    .language_version:
      - 2
      - 0
    .max_flat_workgroup_size: 52
    .name:           bluestein_single_back_len1352_dim1_sp_op_CI_CI
    .private_segment_fixed_size: 180
    .sgpr_count:     22
    .sgpr_spill_count: 0
    .symbol:         bluestein_single_back_len1352_dim1_sp_op_CI_CI.kd
    .uniform_work_group_size: 1
    .uses_dynamic_stack: false
    .vgpr_count:     256
    .vgpr_spill_count: 44
    .wavefront_size: 32
    .workgroup_processor_mode: 1
amdhsa.target:   amdgcn-amd-amdhsa--gfx1201
amdhsa.version:
  - 1
  - 2
...

	.end_amdgpu_metadata
